;; amdgpu-corpus repo=ROCm/rocFFT kind=compiled arch=gfx906 opt=O3
	.text
	.amdgcn_target "amdgcn-amd-amdhsa--gfx906"
	.amdhsa_code_object_version 6
	.protected	bluestein_single_fwd_len169_dim1_dp_op_CI_CI ; -- Begin function bluestein_single_fwd_len169_dim1_dp_op_CI_CI
	.globl	bluestein_single_fwd_len169_dim1_dp_op_CI_CI
	.p2align	8
	.type	bluestein_single_fwd_len169_dim1_dp_op_CI_CI,@function
bluestein_single_fwd_len169_dim1_dp_op_CI_CI: ; @bluestein_single_fwd_len169_dim1_dp_op_CI_CI
; %bb.0:
	v_mul_u32_u24_e32 v1, 0x13b2, v0
	s_load_dwordx4 s[16:19], s[4:5], 0x28
	v_lshrrev_b32_e32 v1, 16, v1
	v_mad_u64_u32 v[112:113], s[0:1], s6, 19, v[1:2]
	v_mov_b32_e32 v113, 0
	s_waitcnt lgkmcnt(0)
	v_cmp_gt_u64_e32 vcc, s[16:17], v[112:113]
	s_and_saveexec_b64 s[0:1], vcc
	s_cbranch_execz .LBB0_2
; %bb.1:
	s_load_dwordx4 s[0:3], s[4:5], 0x18
	s_load_dwordx4 s[8:11], s[4:5], 0x0
	v_mul_lo_u16_e32 v1, 13, v1
	v_sub_u16_e32 v113, v0, v1
	v_mov_b32_e32 v7, s19
	s_waitcnt lgkmcnt(0)
	s_load_dwordx4 s[12:15], s[0:1], 0x0
	s_add_u32 s48, s8, 0xa90
	v_lshlrev_b32_e32 v115, 4, v113
	s_addc_u32 s49, s9, 0
	s_mov_b32 s24, 0x4267c47c
	s_waitcnt lgkmcnt(0)
	v_mad_u64_u32 v[0:1], s[0:1], s14, v112, 0
	v_mad_u64_u32 v[2:3], s[0:1], s12, v113, 0
	s_mov_b32 s25, 0xbfddbe06
	s_mov_b32 s20, 0xe00740e9
	v_mad_u64_u32 v[4:5], s[0:1], s15, v112, v[1:2]
	s_mov_b32 s21, 0x3fec55a7
	s_mov_b32 s14, 0x42a4c3d2
	v_mad_u64_u32 v[5:6], s[0:1], s13, v113, v[3:4]
	v_mov_b32_e32 v1, v4
	v_lshlrev_b64 v[0:1], 4, v[0:1]
	v_mov_b32_e32 v3, v5
	v_add_co_u32_e32 v4, vcc, s18, v0
	v_addc_co_u32_e32 v5, vcc, v7, v1, vcc
	v_lshlrev_b64 v[0:1], 4, v[2:3]
	s_mul_i32 s0, s13, 0xd0
	v_add_co_u32_e32 v0, vcc, v4, v0
	v_addc_co_u32_e32 v1, vcc, v5, v1, vcc
	global_load_dwordx4 v[52:55], v[0:1], off
	s_mul_hi_u32 s1, s12, 0xd0
	s_add_i32 s0, s1, s0
	s_mul_i32 s1, s12, 0xd0
	global_load_dwordx4 v[48:51], v115, s[8:9]
	global_load_dwordx4 v[32:35], v115, s[8:9] offset:208
	v_mov_b32_e32 v2, s0
	v_add_co_u32_e32 v0, vcc, s1, v0
	v_addc_co_u32_e32 v1, vcc, v1, v2, vcc
	v_mov_b32_e32 v3, s0
	v_add_co_u32_e32 v2, vcc, s1, v0
	v_addc_co_u32_e32 v3, vcc, v1, v3, vcc
	global_load_dwordx4 v[56:59], v[0:1], off
	global_load_dwordx4 v[60:63], v[2:3], off
	v_mov_b32_e32 v1, s0
	v_add_co_u32_e32 v0, vcc, s1, v2
	v_addc_co_u32_e32 v1, vcc, v3, v1, vcc
	v_mov_b32_e32 v3, s0
	v_add_co_u32_e32 v2, vcc, s1, v0
	v_addc_co_u32_e32 v3, vcc, v1, v3, vcc
	global_load_dwordx4 v[40:43], v115, s[8:9] offset:416
	global_load_dwordx4 v[20:23], v115, s[8:9] offset:624
	global_load_dwordx4 v[64:67], v[0:1], off
	global_load_dwordx4 v[68:71], v[2:3], off
	v_mov_b32_e32 v1, s0
	v_add_co_u32_e32 v0, vcc, s1, v2
	v_addc_co_u32_e32 v1, vcc, v3, v1, vcc
	global_load_dwordx4 v[73:76], v[0:1], off
	global_load_dwordx4 v[44:47], v115, s[8:9] offset:832
	global_load_dwordx4 v[16:19], v115, s[8:9] offset:1040
	v_mov_b32_e32 v2, s0
	v_add_co_u32_e32 v0, vcc, s1, v0
	v_addc_co_u32_e32 v1, vcc, v1, v2, vcc
	global_load_dwordx4 v[77:80], v[0:1], off
	v_add_co_u32_e32 v0, vcc, s1, v0
	v_addc_co_u32_e32 v1, vcc, v1, v2, vcc
	global_load_dwordx4 v[81:84], v[0:1], off
	global_load_dwordx4 v[36:39], v115, s[8:9] offset:1248
	global_load_dwordx4 v[8:11], v115, s[8:9] offset:1456
	v_add_co_u32_e32 v0, vcc, s1, v0
	v_addc_co_u32_e32 v1, vcc, v1, v2, vcc
	global_load_dwordx4 v[85:88], v[0:1], off
	v_add_co_u32_e32 v0, vcc, s1, v0
	v_addc_co_u32_e32 v1, vcc, v1, v2, vcc
	global_load_dwordx4 v[89:92], v[0:1], off
	global_load_dwordx4 v[28:31], v115, s[8:9] offset:1664
	global_load_dwordx4 v[4:7], v115, s[8:9] offset:1872
	v_add_co_u32_e32 v0, vcc, s1, v0
	v_addc_co_u32_e32 v1, vcc, v1, v2, vcc
	v_add_co_u32_e32 v12, vcc, s1, v0
	v_addc_co_u32_e32 v13, vcc, v1, v2, vcc
	global_load_dwordx4 v[93:96], v[0:1], off
	v_mov_b32_e32 v14, s0
	v_add_co_u32_e32 v105, vcc, s1, v12
	global_load_dwordx4 v[97:100], v[12:13], off
	global_load_dwordx4 v[24:27], v115, s[8:9] offset:2080
	global_load_dwordx4 v[0:3], v115, s[8:9] offset:2288
	v_addc_co_u32_e32 v106, vcc, v13, v14, vcc
	global_load_dwordx4 v[101:104], v[105:106], off
	global_load_dwordx4 v[12:15], v115, s[8:9] offset:2496
	s_mov_b32 s0, 0xaf286bcb
	v_mul_hi_u32 v72, v112, s0
	s_load_dwordx4 s[0:3], s[2:3], 0x0
	s_mov_b32 s6, 0x66966769
	s_mov_b32 s18, 0x2ef20147
	v_sub_u32_e32 v105, v112, v72
	v_lshrrev_b32_e32 v105, 1, v105
	v_add_u32_e32 v72, v105, v72
	v_lshrrev_b32_e32 v72, 4, v72
	v_mul_lo_u32 v72, v72, 19
	s_mov_b32 s26, 0x24c2f84
	s_mov_b32 s34, 0x4bc48dbf
	s_waitcnt vmcnt(24)
	v_mul_f64 v[105:106], v[54:55], v[50:51]
	v_mul_f64 v[107:108], v[52:53], v[50:51]
	v_sub_u32_e32 v72, v112, v72
	v_mul_u32_u24_e32 v72, 0xa9, v72
	v_lshlrev_b32_e32 v72, 4, v72
	v_add_u32_e32 v114, v115, v72
	s_mov_b32 s15, 0xbfea55e2
	s_mov_b32 s7, 0xbfefc445
	v_fma_f64 v[52:53], v[52:53], v[48:49], v[105:106]
	v_fma_f64 v[54:55], v[54:55], v[48:49], -v[107:108]
	s_mov_b32 s19, 0xbfedeba7
	s_waitcnt vmcnt(22)
	v_mul_f64 v[105:106], v[58:59], v[34:35]
	v_mul_f64 v[107:108], v[56:57], v[34:35]
	s_mov_b32 s27, 0xbfe5384d
	s_mov_b32 s35, 0xbfcea1e5
	;; [unrolled: 1-line block ×6, first 2 shown]
	v_fma_f64 v[56:57], v[56:57], v[32:33], v[105:106]
	v_fma_f64 v[58:59], v[58:59], v[32:33], -v[107:108]
	s_mov_b32 s36, 0x93053d00
	s_waitcnt vmcnt(20)
	v_mul_f64 v[109:110], v[62:63], v[42:43]
	v_mul_f64 v[116:117], v[60:61], v[42:43]
	s_waitcnt vmcnt(18)
	v_mul_f64 v[118:119], v[66:67], v[22:23]
	v_mul_f64 v[120:121], v[64:65], v[22:23]
	s_mov_b32 s17, 0x3fe22d96
	s_mov_b32 s13, 0x3fbedb7d
	;; [unrolled: 1-line block ×3, first 2 shown]
	s_waitcnt vmcnt(15)
	v_mul_f64 v[122:123], v[70:71], v[46:47]
	v_mul_f64 v[124:125], v[68:69], v[46:47]
	v_fma_f64 v[60:61], v[60:61], v[40:41], v[109:110]
	v_fma_f64 v[62:63], v[62:63], v[40:41], -v[116:117]
	v_fma_f64 v[64:65], v[64:65], v[20:21], v[118:119]
	v_fma_f64 v[66:67], v[66:67], v[20:21], -v[120:121]
	s_mov_b32 s29, 0xbfe7f3cc
	s_mov_b32 s37, 0xbfef11f4
	v_fma_f64 v[68:69], v[68:69], v[44:45], v[122:123]
	v_fma_f64 v[70:71], v[70:71], v[44:45], -v[124:125]
	ds_write_b128 v114, v[52:55]
	ds_write_b128 v114, v[56:59] offset:208
	ds_write_b128 v114, v[60:63] offset:416
	;; [unrolled: 1-line block ×4, first 2 shown]
	s_waitcnt vmcnt(14)
	v_mul_f64 v[52:53], v[75:76], v[18:19]
	v_mul_f64 v[54:55], v[73:74], v[18:19]
	s_waitcnt vmcnt(11)
	v_mul_f64 v[56:57], v[79:80], v[38:39]
	v_mul_f64 v[58:59], v[77:78], v[38:39]
	s_waitcnt vmcnt(10)
	v_mul_f64 v[60:61], v[83:84], v[10:11]
	v_mul_f64 v[62:63], v[81:82], v[10:11]
	s_mov_b32 s39, 0x3fe5384d
	s_waitcnt vmcnt(7)
	v_mul_f64 v[64:65], v[87:88], v[30:31]
	v_mul_f64 v[66:67], v[85:86], v[30:31]
	s_waitcnt vmcnt(6)
	v_mul_f64 v[68:69], v[91:92], v[6:7]
	v_mul_f64 v[70:71], v[89:90], v[6:7]
	v_fma_f64 v[52:53], v[73:74], v[16:17], v[52:53]
	v_fma_f64 v[54:55], v[75:76], v[16:17], -v[54:55]
	v_fma_f64 v[56:57], v[77:78], v[36:37], v[56:57]
	v_fma_f64 v[58:59], v[79:80], v[36:37], -v[58:59]
	;; [unrolled: 2-line block ×4, first 2 shown]
	v_fma_f64 v[68:69], v[89:90], v[4:5], v[68:69]
	s_waitcnt vmcnt(3)
	v_mul_f64 v[73:74], v[95:96], v[26:27]
	v_mul_f64 v[75:76], v[93:94], v[26:27]
	s_waitcnt vmcnt(2)
	v_mul_f64 v[77:78], v[99:100], v[2:3]
	v_mul_f64 v[79:80], v[97:98], v[2:3]
	;; [unrolled: 3-line block ×3, first 2 shown]
	v_fma_f64 v[70:71], v[91:92], v[4:5], -v[70:71]
	s_mov_b32 s38, s26
	v_fma_f64 v[73:74], v[93:94], v[24:25], v[73:74]
	v_fma_f64 v[75:76], v[95:96], v[24:25], -v[75:76]
	v_fma_f64 v[77:78], v[97:98], v[0:1], v[77:78]
	v_fma_f64 v[79:80], v[99:100], v[0:1], -v[79:80]
	;; [unrolled: 2-line block ×3, first 2 shown]
	ds_write_b128 v114, v[52:55] offset:1040
	ds_write_b128 v114, v[56:59] offset:1248
	;; [unrolled: 1-line block ×8, first 2 shown]
	s_waitcnt lgkmcnt(0)
	s_barrier
	ds_read_b128 v[73:76], v114
	ds_read_b128 v[52:55], v114 offset:208
	ds_read_b128 v[77:80], v114 offset:416
	ds_read_b128 v[81:84], v114 offset:624
	ds_read_b128 v[85:88], v114 offset:832
	ds_read_b128 v[64:67], v114 offset:1040
	s_mov_b32 s31, 0x3fefc445
	s_mov_b32 s30, s6
	s_waitcnt lgkmcnt(4)
	v_add_f64 v[56:57], v[73:74], v[52:53]
	v_add_f64 v[58:59], v[75:76], v[54:55]
	s_mov_b32 s43, 0x3fddbe06
	s_mov_b32 s42, s24
	;; [unrolled: 1-line block ×6, first 2 shown]
	s_waitcnt lgkmcnt(3)
	v_add_f64 v[56:57], v[56:57], v[77:78]
	v_add_f64 v[58:59], v[58:59], v[79:80]
	s_mov_b32 s45, 0x3fea55e2
	s_mov_b32 s44, s14
	s_load_dwordx2 s[4:5], s[4:5], 0x38
	s_waitcnt lgkmcnt(0)
	v_add_f64 v[56:57], v[56:57], v[81:82]
	v_add_f64 v[58:59], v[58:59], v[83:84]
	;; [unrolled: 1-line block ×6, first 2 shown]
	ds_read_b128 v[56:59], v114 offset:1248
	ds_read_b128 v[60:63], v114 offset:1456
	s_waitcnt lgkmcnt(1)
	v_add_f64 v[68:69], v[68:69], v[56:57]
	v_add_f64 v[70:71], v[70:71], v[58:59]
	s_waitcnt lgkmcnt(0)
	v_add_f64 v[93:94], v[68:69], v[60:61]
	v_add_f64 v[95:96], v[70:71], v[62:63]
	ds_read_b128 v[68:71], v114 offset:1664
	ds_read_b128 v[89:92], v114 offset:1872
	s_waitcnt lgkmcnt(1)
	v_add_f64 v[97:98], v[93:94], v[68:69]
	v_add_f64 v[99:100], v[95:96], v[70:71]
	ds_read_b128 v[93:96], v114 offset:2496
	s_waitcnt lgkmcnt(0)
	v_add_f64 v[109:110], v[54:55], -v[95:96]
	v_add_f64 v[105:106], v[97:98], v[89:90]
	v_add_f64 v[107:108], v[99:100], v[91:92]
	v_add_f64 v[116:117], v[52:53], -v[93:94]
	ds_read_b128 v[97:100], v114 offset:2080
	ds_read_b128 v[101:104], v114 offset:2288
	v_add_f64 v[118:119], v[52:53], v[93:94]
	v_add_f64 v[120:121], v[54:55], v[95:96]
	s_waitcnt lgkmcnt(0)
	v_mul_f64 v[122:123], v[109:110], s[24:25]
	v_add_f64 v[105:106], v[105:106], v[97:98]
	v_add_f64 v[107:108], v[107:108], v[99:100]
	v_mul_f64 v[124:125], v[116:117], s[24:25]
	v_mul_f64 v[126:127], v[109:110], s[6:7]
	;; [unrolled: 1-line block ×6, first 2 shown]
	v_add_f64 v[52:53], v[105:106], v[101:102]
	v_add_f64 v[54:55], v[107:108], v[103:104]
	v_fma_f64 v[105:106], v[118:119], s[20:21], -v[122:123]
	v_fma_f64 v[107:108], v[120:121], s[20:21], v[124:125]
	v_mul_f64 v[144:145], v[116:117], s[26:27]
	v_add_f64 v[154:155], v[79:80], -v[103:104]
	v_add_f64 v[156:157], v[77:78], -v[101:102]
	v_fma_f64 v[134:135], v[118:119], s[12:13], -v[126:127]
	v_add_f64 v[52:53], v[52:53], v[93:94]
	v_add_f64 v[54:55], v[54:55], v[95:96]
	;; [unrolled: 1-line block ×4, first 2 shown]
	v_fma_f64 v[105:106], v[118:119], s[20:21], v[122:123]
	v_fma_f64 v[107:108], v[120:121], s[20:21], -v[124:125]
	v_mul_f64 v[122:123], v[109:110], s[14:15]
	v_mul_f64 v[124:125], v[116:117], s[14:15]
	;; [unrolled: 1-line block ×4, first 2 shown]
	v_fma_f64 v[136:137], v[120:121], s[12:13], v[128:129]
	v_fma_f64 v[126:127], v[118:119], s[12:13], v[126:127]
	v_fma_f64 v[128:129], v[120:121], s[12:13], -v[128:129]
	v_fma_f64 v[146:147], v[118:119], s[22:23], -v[138:139]
	;; [unrolled: 1-line block ×3, first 2 shown]
	v_fma_f64 v[132:133], v[120:121], s[16:17], v[124:125]
	v_fma_f64 v[122:123], v[118:119], s[16:17], v[122:123]
	v_fma_f64 v[124:125], v[120:121], s[16:17], -v[124:125]
	v_fma_f64 v[148:149], v[120:121], s[22:23], v[140:141]
	v_fma_f64 v[138:139], v[118:119], s[22:23], v[138:139]
	v_fma_f64 v[140:141], v[120:121], s[22:23], -v[140:141]
	v_fma_f64 v[150:151], v[118:119], s[28:29], -v[142:143]
	v_fma_f64 v[152:153], v[120:121], s[28:29], v[144:145]
	v_fma_f64 v[142:143], v[118:119], s[28:29], v[142:143]
	v_fma_f64 v[144:145], v[120:121], s[28:29], -v[144:145]
	v_add_f64 v[77:78], v[77:78], v[101:102]
	v_add_f64 v[79:80], v[79:80], v[103:104]
	v_mul_f64 v[101:102], v[154:155], s[14:15]
	v_mul_f64 v[103:104], v[156:157], s[14:15]
	v_fma_f64 v[158:159], v[118:119], s[36:37], -v[109:110]
	v_fma_f64 v[160:161], v[120:121], s[36:37], v[116:117]
	v_fma_f64 v[109:110], v[118:119], s[36:37], v[109:110]
	v_fma_f64 v[116:117], v[120:121], s[36:37], -v[116:117]
	v_add_f64 v[105:106], v[73:74], v[105:106]
	v_add_f64 v[107:108], v[75:76], v[107:108]
	;; [unrolled: 1-line block ×18, first 2 shown]
	v_fma_f64 v[142:143], v[77:78], s[16:17], -v[101:102]
	v_fma_f64 v[144:145], v[79:80], s[16:17], v[103:104]
	v_add_f64 v[158:159], v[73:74], v[158:159]
	v_add_f64 v[160:161], v[75:76], v[160:161]
	;; [unrolled: 1-line block ×4, first 2 shown]
	v_mul_f64 v[109:110], v[154:155], s[18:19]
	v_mul_f64 v[116:117], v[156:157], s[18:19]
	v_add_f64 v[93:94], v[142:143], v[93:94]
	v_add_f64 v[95:96], v[144:145], v[95:96]
	v_mul_f64 v[142:143], v[154:155], s[34:35]
	v_mul_f64 v[144:145], v[156:157], s[34:35]
	v_fma_f64 v[101:102], v[77:78], s[16:17], v[101:102]
	v_fma_f64 v[103:104], v[79:80], s[16:17], -v[103:104]
	v_fma_f64 v[162:163], v[77:78], s[22:23], -v[109:110]
	v_fma_f64 v[164:165], v[79:80], s[22:23], v[116:117]
	v_fma_f64 v[109:110], v[77:78], s[22:23], v[109:110]
	v_fma_f64 v[116:117], v[79:80], s[22:23], -v[116:117]
	v_fma_f64 v[166:167], v[77:78], s[36:37], -v[142:143]
	v_fma_f64 v[168:169], v[79:80], s[36:37], v[144:145]
	v_add_f64 v[101:102], v[101:102], v[105:106]
	v_add_f64 v[103:104], v[103:104], v[107:108]
	;; [unrolled: 1-line block ×4, first 2 shown]
	v_mul_f64 v[130:131], v[154:155], s[38:39]
	v_mul_f64 v[132:133], v[156:157], s[38:39]
	v_add_f64 v[109:110], v[109:110], v[122:123]
	v_add_f64 v[116:117], v[116:117], v[124:125]
	;; [unrolled: 1-line block ×4, first 2 shown]
	v_mul_f64 v[134:135], v[154:155], s[30:31]
	v_mul_f64 v[136:137], v[156:157], s[30:31]
	v_fma_f64 v[142:143], v[77:78], s[36:37], v[142:143]
	v_fma_f64 v[144:145], v[79:80], s[36:37], -v[144:145]
	v_fma_f64 v[162:163], v[77:78], s[28:29], -v[130:131]
	v_fma_f64 v[164:165], v[79:80], s[28:29], v[132:133]
	v_fma_f64 v[130:131], v[77:78], s[28:29], v[130:131]
	v_fma_f64 v[132:133], v[79:80], s[28:29], -v[132:133]
	v_fma_f64 v[166:167], v[77:78], s[12:13], -v[134:135]
	v_fma_f64 v[168:169], v[79:80], s[12:13], v[136:137]
	v_add_f64 v[126:127], v[142:143], v[126:127]
	v_add_f64 v[128:129], v[144:145], v[128:129]
	;; [unrolled: 1-line block ×4, first 2 shown]
	v_add_f64 v[146:147], v[83:84], -v[99:100]
	v_add_f64 v[148:149], v[81:82], -v[97:98]
	v_add_f64 v[130:131], v[130:131], v[138:139]
	v_add_f64 v[132:133], v[132:133], v[140:141]
	;; [unrolled: 1-line block ×4, first 2 shown]
	v_mul_f64 v[150:151], v[154:155], s[42:43]
	v_mul_f64 v[152:153], v[156:157], s[42:43]
	v_add_f64 v[81:82], v[81:82], v[97:98]
	v_add_f64 v[83:84], v[83:84], v[99:100]
	v_mul_f64 v[97:98], v[146:147], s[6:7]
	v_mul_f64 v[99:100], v[148:149], s[6:7]
	v_fma_f64 v[134:135], v[77:78], s[12:13], v[134:135]
	v_fma_f64 v[136:137], v[79:80], s[12:13], -v[136:137]
	v_fma_f64 v[154:155], v[77:78], s[20:21], -v[150:151]
	v_fma_f64 v[156:157], v[79:80], s[20:21], v[152:153]
	v_fma_f64 v[77:78], v[77:78], s[20:21], v[150:151]
	v_fma_f64 v[79:80], v[79:80], s[20:21], -v[152:153]
	v_fma_f64 v[150:151], v[81:82], s[12:13], -v[97:98]
	v_fma_f64 v[152:153], v[83:84], s[12:13], v[99:100]
	v_fma_f64 v[97:98], v[81:82], s[12:13], v[97:98]
	v_fma_f64 v[99:100], v[83:84], s[12:13], -v[99:100]
	v_add_f64 v[118:119], v[134:135], v[118:119]
	v_add_f64 v[120:121], v[136:137], v[120:121]
	;; [unrolled: 1-line block ×6, first 2 shown]
	v_mul_f64 v[93:94], v[146:147], s[34:35]
	v_mul_f64 v[95:96], v[148:149], s[34:35]
	;; [unrolled: 1-line block ×4, first 2 shown]
	v_add_f64 v[134:135], v[154:155], v[158:159]
	v_add_f64 v[136:137], v[156:157], v[160:161]
	;; [unrolled: 1-line block ×4, first 2 shown]
	v_fma_f64 v[154:155], v[81:82], s[36:37], -v[93:94]
	v_fma_f64 v[156:157], v[83:84], s[36:37], v[95:96]
	v_fma_f64 v[93:94], v[81:82], s[36:37], v[93:94]
	v_fma_f64 v[95:96], v[83:84], s[36:37], -v[95:96]
	v_fma_f64 v[101:102], v[81:82], s[22:23], -v[150:151]
	v_fma_f64 v[103:104], v[83:84], s[22:23], v[152:153]
	s_barrier
	v_add_f64 v[105:106], v[154:155], v[105:106]
	v_add_f64 v[107:108], v[156:157], v[107:108]
	;; [unrolled: 1-line block ×4, first 2 shown]
	v_mul_f64 v[109:110], v[146:147], s[42:43]
	v_mul_f64 v[116:117], v[148:149], s[42:43]
	v_add_f64 v[101:102], v[101:102], v[122:123]
	v_add_f64 v[103:104], v[103:104], v[124:125]
	v_fma_f64 v[122:123], v[81:82], s[22:23], v[150:151]
	v_fma_f64 v[124:125], v[83:84], s[22:23], -v[152:153]
	v_mul_f64 v[150:151], v[146:147], s[14:15]
	v_mul_f64 v[152:153], v[148:149], s[14:15]
	v_fma_f64 v[154:155], v[81:82], s[20:21], -v[109:110]
	v_fma_f64 v[156:157], v[83:84], s[20:21], v[116:117]
	v_fma_f64 v[109:110], v[81:82], s[20:21], v[109:110]
	v_fma_f64 v[116:117], v[83:84], s[20:21], -v[116:117]
	v_add_f64 v[122:123], v[122:123], v[126:127]
	v_add_f64 v[124:125], v[124:125], v[128:129]
	v_fma_f64 v[126:127], v[81:82], s[16:17], -v[150:151]
	v_fma_f64 v[128:129], v[83:84], s[16:17], v[152:153]
	v_add_f64 v[142:143], v[154:155], v[142:143]
	v_add_f64 v[144:145], v[156:157], v[144:145]
	;; [unrolled: 1-line block ×4, first 2 shown]
	v_mul_f64 v[130:131], v[146:147], s[26:27]
	v_mul_f64 v[132:133], v[148:149], s[26:27]
	v_add_f64 v[126:127], v[126:127], v[138:139]
	v_add_f64 v[128:129], v[128:129], v[140:141]
	v_add_f64 v[138:139], v[87:88], -v[91:92]
	v_add_f64 v[140:141], v[85:86], -v[89:90]
	v_fma_f64 v[146:147], v[81:82], s[16:17], v[150:151]
	v_fma_f64 v[148:149], v[83:84], s[16:17], -v[152:153]
	v_fma_f64 v[150:151], v[81:82], s[28:29], -v[130:131]
	v_fma_f64 v[152:153], v[83:84], s[28:29], v[132:133]
	v_add_f64 v[85:86], v[85:86], v[89:90]
	v_add_f64 v[87:88], v[87:88], v[91:92]
	v_mul_f64 v[89:90], v[138:139], s[18:19]
	v_mul_f64 v[91:92], v[140:141], s[18:19]
	v_fma_f64 v[81:82], v[81:82], s[28:29], v[130:131]
	v_fma_f64 v[83:84], v[83:84], s[28:29], -v[132:133]
	v_add_f64 v[130:131], v[150:151], v[134:135]
	v_add_f64 v[132:133], v[152:153], v[136:137]
	;; [unrolled: 1-line block ×4, first 2 shown]
	v_fma_f64 v[134:135], v[85:86], s[22:23], -v[89:90]
	v_fma_f64 v[136:137], v[87:88], s[22:23], v[91:92]
	v_add_f64 v[73:74], v[81:82], v[73:74]
	v_add_f64 v[75:76], v[83:84], v[75:76]
	v_mul_f64 v[81:82], v[138:139], s[38:39]
	v_mul_f64 v[83:84], v[140:141], s[38:39]
	v_fma_f64 v[89:90], v[85:86], s[22:23], v[89:90]
	v_fma_f64 v[91:92], v[87:88], s[22:23], -v[91:92]
	v_add_f64 v[77:78], v[134:135], v[77:78]
	v_add_f64 v[79:80], v[136:137], v[79:80]
	v_mul_f64 v[134:135], v[138:139], s[42:43]
	v_mul_f64 v[136:137], v[140:141], s[42:43]
	v_fma_f64 v[146:147], v[85:86], s[28:29], -v[81:82]
	v_fma_f64 v[148:149], v[87:88], s[28:29], v[83:84]
	v_add_f64 v[89:90], v[89:90], v[97:98]
	v_add_f64 v[91:92], v[91:92], v[99:100]
	v_fma_f64 v[81:82], v[85:86], s[28:29], v[81:82]
	v_fma_f64 v[83:84], v[87:88], s[28:29], -v[83:84]
	v_fma_f64 v[97:98], v[85:86], s[20:21], -v[134:135]
	v_fma_f64 v[99:100], v[87:88], s[20:21], v[136:137]
	v_add_f64 v[105:106], v[146:147], v[105:106]
	v_add_f64 v[107:108], v[148:149], v[107:108]
	v_mul_f64 v[146:147], v[138:139], s[6:7]
	v_mul_f64 v[148:149], v[140:141], s[6:7]
	v_add_f64 v[81:82], v[81:82], v[93:94]
	v_add_f64 v[83:84], v[83:84], v[95:96]
	v_add_f64 v[93:94], v[97:98], v[101:102]
	v_add_f64 v[95:96], v[99:100], v[103:104]
	v_fma_f64 v[97:98], v[85:86], s[20:21], v[134:135]
	v_fma_f64 v[99:100], v[87:88], s[20:21], -v[136:137]
	v_mul_f64 v[134:135], v[138:139], s[46:47]
	v_mul_f64 v[136:137], v[140:141], s[46:47]
	v_fma_f64 v[101:102], v[85:86], s[12:13], -v[146:147]
	v_fma_f64 v[103:104], v[87:88], s[12:13], v[148:149]
	v_mul_f64 v[138:139], v[138:139], s[44:45]
	v_mul_f64 v[140:141], v[140:141], s[44:45]
	v_add_f64 v[97:98], v[97:98], v[122:123]
	v_add_f64 v[99:100], v[99:100], v[124:125]
	v_fma_f64 v[122:123], v[85:86], s[36:37], -v[134:135]
	v_fma_f64 v[124:125], v[87:88], s[36:37], v[136:137]
	v_fma_f64 v[134:135], v[85:86], s[36:37], v[134:135]
	v_fma_f64 v[136:137], v[87:88], s[36:37], -v[136:137]
	v_fma_f64 v[146:147], v[85:86], s[12:13], v[146:147]
	v_fma_f64 v[148:149], v[87:88], s[12:13], -v[148:149]
	v_add_f64 v[101:102], v[101:102], v[142:143]
	v_add_f64 v[103:104], v[103:104], v[144:145]
	;; [unrolled: 1-line block ×4, first 2 shown]
	v_add_f64 v[126:127], v[66:67], -v[70:71]
	v_add_f64 v[128:129], v[64:65], -v[68:69]
	v_add_f64 v[64:65], v[64:65], v[68:69]
	v_add_f64 v[66:67], v[66:67], v[70:71]
	v_fma_f64 v[142:143], v[85:86], s[16:17], -v[138:139]
	v_fma_f64 v[144:145], v[87:88], s[16:17], v[140:141]
	v_fma_f64 v[85:86], v[85:86], s[16:17], v[138:139]
	v_fma_f64 v[87:88], v[87:88], s[16:17], -v[140:141]
	v_mul_f64 v[68:69], v[126:127], s[26:27]
	v_mul_f64 v[70:71], v[128:129], s[26:27]
	v_add_f64 v[118:119], v[134:135], v[118:119]
	v_add_f64 v[120:121], v[136:137], v[120:121]
	;; [unrolled: 1-line block ×6, first 2 shown]
	v_fma_f64 v[134:135], v[64:65], s[28:29], -v[68:69]
	v_fma_f64 v[136:137], v[66:67], s[28:29], v[70:71]
	v_mul_f64 v[85:86], v[126:127], s[30:31]
	v_mul_f64 v[87:88], v[128:129], s[30:31]
	v_fma_f64 v[68:69], v[64:65], s[28:29], v[68:69]
	v_fma_f64 v[70:71], v[66:67], s[28:29], -v[70:71]
	v_add_f64 v[130:131], v[142:143], v[130:131]
	v_add_f64 v[132:133], v[144:145], v[132:133]
	;; [unrolled: 1-line block ×4, first 2 shown]
	v_mul_f64 v[134:135], v[126:127], s[14:15]
	v_mul_f64 v[136:137], v[128:129], s[14:15]
	v_fma_f64 v[138:139], v[64:65], s[12:13], -v[85:86]
	v_fma_f64 v[140:141], v[66:67], s[12:13], v[87:88]
	v_add_f64 v[68:69], v[68:69], v[89:90]
	v_add_f64 v[70:71], v[70:71], v[91:92]
	v_fma_f64 v[85:86], v[64:65], s[12:13], v[85:86]
	v_fma_f64 v[87:88], v[66:67], s[12:13], -v[87:88]
	v_fma_f64 v[89:90], v[64:65], s[16:17], -v[134:135]
	v_fma_f64 v[91:92], v[66:67], s[16:17], v[136:137]
	v_add_f64 v[105:106], v[138:139], v[105:106]
	v_add_f64 v[107:108], v[140:141], v[107:108]
	v_mul_f64 v[138:139], v[126:127], s[46:47]
	v_mul_f64 v[140:141], v[128:129], s[46:47]
	v_add_f64 v[81:82], v[85:86], v[81:82]
	v_add_f64 v[83:84], v[87:88], v[83:84]
	;; [unrolled: 1-line block ×4, first 2 shown]
	v_fma_f64 v[89:90], v[64:65], s[16:17], v[134:135]
	v_fma_f64 v[91:92], v[66:67], s[16:17], -v[136:137]
	v_mul_f64 v[134:135], v[126:127], s[42:43]
	v_mul_f64 v[136:137], v[128:129], s[42:43]
	v_fma_f64 v[93:94], v[64:65], s[36:37], -v[138:139]
	v_fma_f64 v[95:96], v[66:67], s[36:37], v[140:141]
	v_fma_f64 v[138:139], v[64:65], s[36:37], v[138:139]
	v_fma_f64 v[140:141], v[66:67], s[36:37], -v[140:141]
	v_add_f64 v[89:90], v[89:90], v[97:98]
	v_add_f64 v[91:92], v[91:92], v[99:100]
	v_fma_f64 v[97:98], v[64:65], s[20:21], -v[134:135]
	v_fma_f64 v[99:100], v[66:67], s[20:21], v[136:137]
	v_add_f64 v[93:94], v[93:94], v[101:102]
	v_add_f64 v[95:96], v[95:96], v[103:104]
	;; [unrolled: 1-line block ×4, first 2 shown]
	v_fma_f64 v[109:110], v[64:65], s[20:21], v[134:135]
	v_fma_f64 v[116:117], v[66:67], s[20:21], -v[136:137]
	v_add_f64 v[97:98], v[97:98], v[122:123]
	v_add_f64 v[99:100], v[99:100], v[124:125]
	v_add_f64 v[122:123], v[58:59], -v[62:63]
	v_add_f64 v[124:125], v[56:57], -v[60:61]
	v_mul_f64 v[126:127], v[126:127], s[18:19]
	v_mul_f64 v[128:129], v[128:129], s[18:19]
	v_add_f64 v[134:135], v[56:57], v[60:61]
	v_add_f64 v[136:137], v[58:59], v[62:63]
	;; [unrolled: 1-line block ×4, first 2 shown]
	v_mul_f64 v[56:57], v[122:123], s[34:35]
	v_mul_f64 v[58:59], v[124:125], s[34:35]
	v_fma_f64 v[118:119], v[64:65], s[22:23], -v[126:127]
	v_fma_f64 v[120:121], v[66:67], s[22:23], v[128:129]
	v_fma_f64 v[60:61], v[64:65], s[22:23], v[126:127]
	v_fma_f64 v[62:63], v[66:67], s[22:23], -v[128:129]
	v_mul_f64 v[126:127], v[122:123], s[42:43]
	v_mul_f64 v[128:129], v[124:125], s[42:43]
	v_fma_f64 v[64:65], v[134:135], s[36:37], -v[56:57]
	v_fma_f64 v[66:67], v[136:137], s[36:37], v[58:59]
	v_add_f64 v[118:119], v[118:119], v[130:131]
	v_add_f64 v[120:121], v[120:121], v[132:133]
	;; [unrolled: 1-line block ×4, first 2 shown]
	v_fma_f64 v[60:61], v[134:135], s[36:37], v[56:57]
	v_fma_f64 v[62:63], v[136:137], s[36:37], -v[58:59]
	v_fma_f64 v[73:74], v[134:135], s[20:21], -v[126:127]
	v_fma_f64 v[75:76], v[136:137], s[20:21], v[128:129]
	v_add_f64 v[56:57], v[64:65], v[77:78]
	v_add_f64 v[58:59], v[66:67], v[79:80]
	v_mul_f64 v[77:78], v[122:123], s[26:27]
	v_mul_f64 v[79:80], v[124:125], s[26:27]
	v_add_f64 v[60:61], v[60:61], v[68:69]
	v_add_f64 v[62:63], v[62:63], v[70:71]
	;; [unrolled: 1-line block ×4, first 2 shown]
	v_fma_f64 v[68:69], v[134:135], s[20:21], v[126:127]
	v_fma_f64 v[70:71], v[136:137], s[20:21], -v[128:129]
	v_mul_f64 v[105:106], v[122:123], s[44:45]
	v_mul_f64 v[107:108], v[124:125], s[44:45]
	v_fma_f64 v[73:74], v[134:135], s[28:29], -v[77:78]
	v_fma_f64 v[75:76], v[136:137], s[28:29], v[79:80]
	v_fma_f64 v[77:78], v[134:135], s[28:29], v[77:78]
	v_fma_f64 v[79:80], v[136:137], s[28:29], -v[79:80]
	v_add_f64 v[68:69], v[68:69], v[81:82]
	v_add_f64 v[70:71], v[70:71], v[83:84]
	v_fma_f64 v[81:82], v[134:135], s[16:17], -v[105:106]
	v_fma_f64 v[83:84], v[136:137], s[16:17], v[107:108]
	v_add_f64 v[73:74], v[73:74], v[85:86]
	v_add_f64 v[75:76], v[75:76], v[87:88]
	;; [unrolled: 1-line block ×4, first 2 shown]
	v_fma_f64 v[85:86], v[134:135], s[16:17], v[105:106]
	v_fma_f64 v[87:88], v[136:137], s[16:17], -v[107:108]
	v_mul_f64 v[89:90], v[122:123], s[18:19]
	v_mul_f64 v[91:92], v[124:125], s[18:19]
	v_add_f64 v[81:82], v[81:82], v[93:94]
	v_add_f64 v[83:84], v[83:84], v[95:96]
	v_mul_f64 v[93:94], v[122:123], s[30:31]
	v_mul_f64 v[95:96], v[124:125], s[30:31]
	v_add_f64 v[85:86], v[85:86], v[101:102]
	v_add_f64 v[87:88], v[87:88], v[103:104]
	v_fma_f64 v[101:102], v[134:135], s[22:23], -v[89:90]
	v_fma_f64 v[103:104], v[136:137], s[22:23], v[91:92]
	v_fma_f64 v[105:106], v[134:135], s[22:23], v[89:90]
	v_fma_f64 v[107:108], v[136:137], s[22:23], -v[91:92]
	v_fma_f64 v[122:123], v[134:135], s[12:13], -v[93:94]
	v_fma_f64 v[124:125], v[136:137], s[12:13], v[95:96]
	v_fma_f64 v[126:127], v[134:135], s[12:13], v[93:94]
	v_fma_f64 v[128:129], v[136:137], s[12:13], -v[95:96]
	v_add_f64 v[89:90], v[101:102], v[97:98]
	v_add_f64 v[91:92], v[103:104], v[99:100]
	;; [unrolled: 1-line block ×3, first 2 shown]
	v_mul_lo_u16_e32 v105, 13, v113
	v_add_f64 v[97:98], v[122:123], v[118:119]
	v_add_f64 v[99:100], v[124:125], v[120:121]
	;; [unrolled: 1-line block ×5, first 2 shown]
	v_lshl_add_u32 v116, v105, 4, v72
	ds_write_b128 v116, v[52:55]
	ds_write_b128 v116, v[56:59] offset:16
	ds_write_b128 v116, v[64:67] offset:32
	;; [unrolled: 1-line block ×12, first 2 shown]
	v_mul_u32_u24_e32 v52, 12, v113
	v_lshlrev_b32_e32 v76, 4, v52
	s_waitcnt lgkmcnt(0)
	s_barrier
	global_load_dwordx4 v[84:87], v76, s[10:11]
	global_load_dwordx4 v[80:83], v76, s[10:11] offset:16
	global_load_dwordx4 v[56:59], v76, s[10:11] offset:32
	;; [unrolled: 1-line block ×10, first 2 shown]
	ds_read_b128 v[100:103], v114 offset:208
	ds_read_b128 v[104:107], v114 offset:416
	global_load_dwordx4 v[76:79], v76, s[10:11] offset:160
	ds_read_b128 v[108:111], v114 offset:624
	s_waitcnt vmcnt(11) lgkmcnt(2)
	v_mul_f64 v[117:118], v[102:103], v[86:87]
	v_mul_f64 v[119:120], v[100:101], v[86:87]
	s_waitcnt vmcnt(10) lgkmcnt(1)
	v_mul_f64 v[121:122], v[106:107], v[82:83]
	v_mul_f64 v[123:124], v[104:105], v[82:83]
	v_fma_f64 v[137:138], v[100:101], v[84:85], -v[117:118]
	v_fma_f64 v[139:140], v[102:103], v[84:85], v[119:120]
	ds_read_b128 v[117:120], v114
	v_fma_f64 v[141:142], v[104:105], v[80:81], -v[121:122]
	v_fma_f64 v[143:144], v[106:107], v[80:81], v[123:124]
	s_waitcnt vmcnt(9) lgkmcnt(1)
	v_mul_f64 v[121:122], v[110:111], v[58:59]
	v_mul_f64 v[125:126], v[108:109], v[58:59]
	ds_read_b128 v[100:103], v114 offset:832
	ds_read_b128 v[104:107], v114 offset:1040
	s_waitcnt lgkmcnt(2)
	v_add_f64 v[123:124], v[117:118], v[137:138]
	v_add_f64 v[127:128], v[119:120], v[139:140]
	s_waitcnt vmcnt(8) lgkmcnt(1)
	v_mul_f64 v[129:130], v[102:103], v[54:55]
	v_mul_f64 v[131:132], v[100:101], v[54:55]
	v_fma_f64 v[145:146], v[108:109], v[56:57], -v[121:122]
	v_fma_f64 v[147:148], v[110:111], v[56:57], v[125:126]
	s_waitcnt vmcnt(7) lgkmcnt(0)
	v_mul_f64 v[121:122], v[106:107], v[74:75]
	v_add_f64 v[108:109], v[123:124], v[141:142]
	v_add_f64 v[110:111], v[127:128], v[143:144]
	v_mul_f64 v[125:126], v[104:105], v[74:75]
	v_fma_f64 v[149:150], v[100:101], v[52:53], -v[129:130]
	v_fma_f64 v[151:152], v[102:103], v[52:53], v[131:132]
	ds_read_b128 v[100:103], v114 offset:1248
	v_fma_f64 v[153:154], v[104:105], v[72:73], -v[121:122]
	v_add_f64 v[123:124], v[108:109], v[145:146]
	v_add_f64 v[127:128], v[110:111], v[147:148]
	ds_read_b128 v[108:111], v114 offset:1456
	s_waitcnt vmcnt(6) lgkmcnt(1)
	v_mul_f64 v[129:130], v[102:103], v[70:71]
	v_mul_f64 v[131:132], v[100:101], v[70:71]
	v_fma_f64 v[155:156], v[106:107], v[72:73], v[125:126]
	s_waitcnt vmcnt(5) lgkmcnt(0)
	v_mul_f64 v[125:126], v[110:111], v[66:67]
	v_add_f64 v[121:122], v[123:124], v[149:150]
	v_add_f64 v[123:124], v[127:128], v[151:152]
	v_mul_f64 v[127:128], v[108:109], v[66:67]
	v_fma_f64 v[104:105], v[100:101], v[68:69], -v[129:130]
	v_fma_f64 v[106:107], v[102:103], v[68:69], v[131:132]
	ds_read_b128 v[100:103], v114 offset:1664
	v_fma_f64 v[108:109], v[108:109], v[64:65], -v[125:126]
	v_add_f64 v[129:130], v[121:122], v[153:154]
	v_add_f64 v[131:132], v[123:124], v[155:156]
	ds_read_b128 v[121:124], v114 offset:1872
	s_waitcnt vmcnt(4) lgkmcnt(1)
	v_mul_f64 v[157:158], v[102:103], v[62:63]
	v_mul_f64 v[159:160], v[100:101], v[62:63]
	v_fma_f64 v[110:111], v[110:111], v[64:65], v[127:128]
	v_add_f64 v[161:162], v[129:130], v[104:105]
	v_add_f64 v[163:164], v[131:132], v[106:107]
	ds_read_b128 v[125:128], v114 offset:2080
	ds_read_b128 v[129:132], v114 offset:2288
	ds_read_b128 v[133:136], v114 offset:2496
	v_fma_f64 v[157:158], v[100:101], v[60:61], -v[157:158]
	v_fma_f64 v[159:160], v[102:103], v[60:61], v[159:160]
	s_waitcnt vmcnt(3) lgkmcnt(3)
	v_mul_f64 v[100:101], v[123:124], v[98:99]
	v_mul_f64 v[102:103], v[121:122], v[98:99]
	s_waitcnt vmcnt(2) lgkmcnt(2)
	v_mul_f64 v[165:166], v[127:128], v[94:95]
	v_add_f64 v[161:162], v[161:162], v[108:109]
	v_add_f64 v[163:164], v[163:164], v[110:111]
	v_mul_f64 v[167:168], v[125:126], v[94:95]
	s_waitcnt vmcnt(1) lgkmcnt(0)
	v_mul_f64 v[169:170], v[133:134], v[90:91]
	v_mul_f64 v[171:172], v[135:136], v[90:91]
	v_fma_f64 v[121:122], v[121:122], v[96:97], -v[100:101]
	v_fma_f64 v[123:124], v[123:124], v[96:97], v[102:103]
	v_fma_f64 v[125:126], v[125:126], v[92:93], -v[165:166]
	v_add_f64 v[100:101], v[161:162], v[157:158]
	v_add_f64 v[102:103], v[163:164], v[159:160]
	v_fma_f64 v[127:128], v[127:128], v[92:93], v[167:168]
	s_waitcnt vmcnt(0)
	v_mul_f64 v[161:162], v[131:132], v[78:79]
	v_mul_f64 v[163:164], v[129:130], v[78:79]
	v_fma_f64 v[135:136], v[135:136], v[88:89], v[169:170]
	v_fma_f64 v[133:134], v[133:134], v[88:89], -v[171:172]
	v_add_f64 v[100:101], v[100:101], v[121:122]
	v_add_f64 v[102:103], v[102:103], v[123:124]
	v_fma_f64 v[129:130], v[129:130], v[76:77], -v[161:162]
	v_fma_f64 v[131:132], v[131:132], v[76:77], v[163:164]
	v_add_f64 v[165:166], v[139:140], -v[135:136]
	v_add_f64 v[167:168], v[137:138], -v[133:134]
	v_add_f64 v[137:138], v[137:138], v[133:134]
	v_add_f64 v[100:101], v[100:101], v[125:126]
	;; [unrolled: 1-line block ×4, first 2 shown]
	v_add_f64 v[203:204], v[141:142], -v[129:130]
	v_add_f64 v[201:202], v[143:144], -v[131:132]
	v_mul_f64 v[161:162], v[165:166], s[24:25]
	v_mul_f64 v[163:164], v[167:168], s[24:25]
	;; [unrolled: 1-line block ×3, first 2 shown]
	v_add_f64 v[100:101], v[100:101], v[129:130]
	v_add_f64 v[102:103], v[102:103], v[131:132]
	v_mul_f64 v[175:176], v[167:168], s[6:7]
	v_mul_f64 v[185:186], v[165:166], s[18:19]
	;; [unrolled: 1-line block ×5, first 2 shown]
	v_fma_f64 v[169:170], v[137:138], s[20:21], -v[161:162]
	v_add_f64 v[100:101], v[100:101], v[133:134]
	v_add_f64 v[102:103], v[102:103], v[135:136]
	v_mul_f64 v[133:134], v[165:166], s[14:15]
	v_mul_f64 v[135:136], v[167:168], s[14:15]
	;; [unrolled: 1-line block ×4, first 2 shown]
	v_fma_f64 v[171:172], v[139:140], s[20:21], v[163:164]
	v_fma_f64 v[161:162], v[137:138], s[20:21], v[161:162]
	v_fma_f64 v[163:164], v[139:140], s[20:21], -v[163:164]
	v_fma_f64 v[181:182], v[137:138], s[12:13], -v[173:174]
	v_fma_f64 v[177:178], v[137:138], s[16:17], -v[133:134]
	v_fma_f64 v[179:180], v[139:140], s[16:17], v[135:136]
	v_fma_f64 v[133:134], v[137:138], s[16:17], v[133:134]
	v_fma_f64 v[135:136], v[139:140], s[16:17], -v[135:136]
	v_fma_f64 v[183:184], v[139:140], s[12:13], v[175:176]
	v_fma_f64 v[173:174], v[137:138], s[12:13], v[173:174]
	v_fma_f64 v[175:176], v[139:140], s[12:13], -v[175:176]
	v_fma_f64 v[193:194], v[137:138], s[22:23], -v[185:186]
	v_fma_f64 v[195:196], v[139:140], s[22:23], v[187:188]
	v_fma_f64 v[185:186], v[137:138], s[22:23], v[185:186]
	v_fma_f64 v[187:188], v[139:140], s[22:23], -v[187:188]
	;; [unrolled: 4-line block ×3, first 2 shown]
	v_add_f64 v[129:130], v[141:142], v[129:130]
	v_add_f64 v[131:132], v[143:144], v[131:132]
	v_mul_f64 v[141:142], v[201:202], s[14:15]
	v_mul_f64 v[143:144], v[203:204], s[14:15]
	v_fma_f64 v[205:206], v[137:138], s[36:37], -v[165:166]
	v_fma_f64 v[207:208], v[139:140], s[36:37], v[167:168]
	v_fma_f64 v[137:138], v[137:138], s[36:37], v[165:166]
	v_fma_f64 v[139:140], v[139:140], s[36:37], -v[167:168]
	v_add_f64 v[169:170], v[117:118], v[169:170]
	v_add_f64 v[171:172], v[119:120], v[171:172]
	;; [unrolled: 1-line block ×20, first 2 shown]
	v_fma_f64 v[189:190], v[129:130], s[16:17], -v[141:142]
	v_fma_f64 v[191:192], v[131:132], s[16:17], v[143:144]
	v_add_f64 v[205:206], v[117:118], v[205:206]
	v_add_f64 v[207:208], v[119:120], v[207:208]
	;; [unrolled: 1-line block ×4, first 2 shown]
	v_mul_f64 v[137:138], v[201:202], s[18:19]
	v_mul_f64 v[139:140], v[203:204], s[18:19]
	v_add_f64 v[169:170], v[189:190], v[169:170]
	v_add_f64 v[171:172], v[191:192], v[171:172]
	v_fma_f64 v[141:142], v[129:130], s[16:17], v[141:142]
	v_fma_f64 v[143:144], v[131:132], s[16:17], -v[143:144]
	v_mul_f64 v[189:190], v[201:202], s[34:35]
	v_mul_f64 v[191:192], v[203:204], s[34:35]
	v_fma_f64 v[209:210], v[129:130], s[22:23], -v[137:138]
	v_fma_f64 v[211:212], v[131:132], s[22:23], v[139:140]
	v_fma_f64 v[137:138], v[129:130], s[22:23], v[137:138]
	v_fma_f64 v[139:140], v[131:132], s[22:23], -v[139:140]
	v_add_f64 v[141:142], v[141:142], v[161:162]
	v_add_f64 v[143:144], v[143:144], v[163:164]
	v_fma_f64 v[161:162], v[129:130], s[36:37], -v[189:190]
	v_fma_f64 v[163:164], v[131:132], s[36:37], v[191:192]
	v_add_f64 v[177:178], v[209:210], v[177:178]
	v_add_f64 v[179:180], v[211:212], v[179:180]
	;; [unrolled: 1-line block ×4, first 2 shown]
	v_mul_f64 v[137:138], v[201:202], s[38:39]
	v_mul_f64 v[139:140], v[203:204], s[38:39]
	v_add_f64 v[161:162], v[161:162], v[181:182]
	v_add_f64 v[163:164], v[163:164], v[183:184]
	v_mul_f64 v[181:182], v[201:202], s[30:31]
	v_mul_f64 v[183:184], v[203:204], s[30:31]
	v_fma_f64 v[189:190], v[129:130], s[36:37], v[189:190]
	v_fma_f64 v[191:192], v[131:132], s[36:37], -v[191:192]
	v_fma_f64 v[209:210], v[129:130], s[28:29], -v[137:138]
	v_fma_f64 v[211:212], v[131:132], s[28:29], v[139:140]
	v_fma_f64 v[137:138], v[129:130], s[28:29], v[137:138]
	v_fma_f64 v[139:140], v[131:132], s[28:29], -v[139:140]
	v_fma_f64 v[213:214], v[129:130], s[12:13], -v[181:182]
	v_fma_f64 v[215:216], v[131:132], s[12:13], v[183:184]
	v_add_f64 v[173:174], v[189:190], v[173:174]
	v_add_f64 v[175:176], v[191:192], v[175:176]
	;; [unrolled: 1-line block ×4, first 2 shown]
	v_add_f64 v[193:194], v[147:148], -v[127:128]
	v_add_f64 v[195:196], v[145:146], -v[125:126]
	v_add_f64 v[137:138], v[137:138], v[185:186]
	v_add_f64 v[139:140], v[139:140], v[187:188]
	;; [unrolled: 1-line block ×4, first 2 shown]
	v_mul_f64 v[197:198], v[201:202], s[42:43]
	v_mul_f64 v[199:200], v[203:204], s[42:43]
	v_fma_f64 v[181:182], v[129:130], s[12:13], v[181:182]
	v_fma_f64 v[183:184], v[131:132], s[12:13], -v[183:184]
	v_add_f64 v[125:126], v[145:146], v[125:126]
	v_add_f64 v[127:128], v[147:148], v[127:128]
	v_mul_f64 v[145:146], v[193:194], s[6:7]
	v_mul_f64 v[147:148], v[195:196], s[6:7]
	v_fma_f64 v[201:202], v[129:130], s[20:21], -v[197:198]
	v_fma_f64 v[203:204], v[131:132], s[20:21], v[199:200]
	v_fma_f64 v[129:130], v[129:130], s[20:21], v[197:198]
	v_fma_f64 v[131:132], v[131:132], s[20:21], -v[199:200]
	v_add_f64 v[165:166], v[181:182], v[165:166]
	v_add_f64 v[167:168], v[183:184], v[167:168]
	v_fma_f64 v[181:182], v[125:126], s[12:13], -v[145:146]
	v_fma_f64 v[183:184], v[127:128], s[12:13], v[147:148]
	v_fma_f64 v[145:146], v[125:126], s[12:13], v[145:146]
	v_fma_f64 v[147:148], v[127:128], s[12:13], -v[147:148]
	v_add_f64 v[117:118], v[129:130], v[117:118]
	v_add_f64 v[119:120], v[131:132], v[119:120]
	v_mul_f64 v[129:130], v[193:194], s[34:35]
	v_mul_f64 v[131:132], v[195:196], s[34:35]
	v_add_f64 v[169:170], v[181:182], v[169:170]
	v_add_f64 v[171:172], v[183:184], v[171:172]
	v_mul_f64 v[181:182], v[193:194], s[40:41]
	v_mul_f64 v[183:184], v[195:196], s[40:41]
	v_add_f64 v[197:198], v[201:202], v[205:206]
	v_add_f64 v[199:200], v[203:204], v[207:208]
	v_fma_f64 v[201:202], v[125:126], s[36:37], -v[129:130]
	v_fma_f64 v[203:204], v[127:128], s[36:37], v[131:132]
	v_fma_f64 v[129:130], v[125:126], s[36:37], v[129:130]
	v_fma_f64 v[131:132], v[127:128], s[36:37], -v[131:132]
	v_add_f64 v[141:142], v[145:146], v[141:142]
	v_add_f64 v[143:144], v[147:148], v[143:144]
	v_fma_f64 v[145:146], v[125:126], s[22:23], -v[181:182]
	v_fma_f64 v[147:148], v[127:128], s[22:23], v[183:184]
	v_add_f64 v[177:178], v[201:202], v[177:178]
	v_add_f64 v[179:180], v[203:204], v[179:180]
	;; [unrolled: 1-line block ×4, first 2 shown]
	v_mul_f64 v[133:134], v[193:194], s[42:43]
	v_mul_f64 v[135:136], v[195:196], s[42:43]
	v_add_f64 v[145:146], v[145:146], v[161:162]
	v_add_f64 v[147:148], v[147:148], v[163:164]
	v_mul_f64 v[161:162], v[193:194], s[14:15]
	v_mul_f64 v[163:164], v[195:196], s[14:15]
	v_fma_f64 v[181:182], v[125:126], s[22:23], v[181:182]
	v_fma_f64 v[183:184], v[127:128], s[22:23], -v[183:184]
	v_fma_f64 v[201:202], v[125:126], s[20:21], -v[133:134]
	v_fma_f64 v[203:204], v[127:128], s[20:21], v[135:136]
	v_fma_f64 v[133:134], v[125:126], s[20:21], v[133:134]
	v_fma_f64 v[135:136], v[127:128], s[20:21], -v[135:136]
	v_fma_f64 v[205:206], v[125:126], s[16:17], -v[161:162]
	v_fma_f64 v[207:208], v[127:128], s[16:17], v[163:164]
	v_add_f64 v[173:174], v[181:182], v[173:174]
	v_add_f64 v[175:176], v[183:184], v[175:176]
	;; [unrolled: 1-line block ×8, first 2 shown]
	v_add_f64 v[185:186], v[151:152], -v[123:124]
	v_add_f64 v[187:188], v[149:150], -v[121:122]
	v_mul_f64 v[189:190], v[193:194], s[26:27]
	v_mul_f64 v[191:192], v[195:196], s[26:27]
	v_fma_f64 v[161:162], v[125:126], s[16:17], v[161:162]
	v_fma_f64 v[163:164], v[127:128], s[16:17], -v[163:164]
	v_add_f64 v[121:122], v[149:150], v[121:122]
	v_add_f64 v[123:124], v[151:152], v[123:124]
	v_mul_f64 v[149:150], v[185:186], s[18:19]
	v_mul_f64 v[151:152], v[187:188], s[18:19]
	v_fma_f64 v[193:194], v[125:126], s[28:29], -v[189:190]
	v_fma_f64 v[195:196], v[127:128], s[28:29], v[191:192]
	v_fma_f64 v[125:126], v[125:126], s[28:29], v[189:190]
	v_fma_f64 v[127:128], v[127:128], s[28:29], -v[191:192]
	v_add_f64 v[161:162], v[161:162], v[165:166]
	v_add_f64 v[163:164], v[163:164], v[167:168]
	v_fma_f64 v[165:166], v[121:122], s[22:23], -v[149:150]
	v_fma_f64 v[167:168], v[123:124], s[22:23], v[151:152]
	v_fma_f64 v[149:150], v[121:122], s[22:23], v[149:150]
	v_fma_f64 v[151:152], v[123:124], s[22:23], -v[151:152]
	v_add_f64 v[117:118], v[125:126], v[117:118]
	v_add_f64 v[119:120], v[127:128], v[119:120]
	v_mul_f64 v[125:126], v[185:186], s[38:39]
	v_mul_f64 v[127:128], v[187:188], s[38:39]
	v_add_f64 v[165:166], v[165:166], v[169:170]
	v_add_f64 v[167:168], v[167:168], v[171:172]
	v_mul_f64 v[169:170], v[185:186], s[42:43]
	v_mul_f64 v[171:172], v[187:188], s[42:43]
	v_add_f64 v[189:190], v[193:194], v[197:198]
	v_add_f64 v[191:192], v[195:196], v[199:200]
	v_fma_f64 v[193:194], v[121:122], s[28:29], -v[125:126]
	v_fma_f64 v[195:196], v[123:124], s[28:29], v[127:128]
	v_fma_f64 v[125:126], v[121:122], s[28:29], v[125:126]
	v_fma_f64 v[127:128], v[123:124], s[28:29], -v[127:128]
	v_add_f64 v[141:142], v[149:150], v[141:142]
	v_add_f64 v[143:144], v[151:152], v[143:144]
	v_fma_f64 v[149:150], v[121:122], s[20:21], -v[169:170]
	v_fma_f64 v[151:152], v[123:124], s[20:21], v[171:172]
	v_add_f64 v[177:178], v[193:194], v[177:178]
	v_add_f64 v[179:180], v[195:196], v[179:180]
	;; [unrolled: 1-line block ×4, first 2 shown]
	v_mul_f64 v[129:130], v[185:186], s[6:7]
	v_mul_f64 v[131:132], v[187:188], s[6:7]
	v_add_f64 v[145:146], v[149:150], v[145:146]
	v_add_f64 v[147:148], v[151:152], v[147:148]
	v_fma_f64 v[149:150], v[121:122], s[20:21], v[169:170]
	v_fma_f64 v[151:152], v[123:124], s[20:21], -v[171:172]
	v_mul_f64 v[169:170], v[185:186], s[46:47]
	v_mul_f64 v[171:172], v[187:188], s[46:47]
	v_fma_f64 v[193:194], v[121:122], s[12:13], -v[129:130]
	v_fma_f64 v[195:196], v[123:124], s[12:13], v[131:132]
	v_fma_f64 v[129:130], v[121:122], s[12:13], v[129:130]
	v_fma_f64 v[131:132], v[123:124], s[12:13], -v[131:132]
	v_add_f64 v[149:150], v[149:150], v[173:174]
	v_add_f64 v[151:152], v[151:152], v[175:176]
	v_fma_f64 v[173:174], v[121:122], s[36:37], -v[169:170]
	v_fma_f64 v[175:176], v[123:124], s[36:37], v[171:172]
	v_fma_f64 v[169:170], v[121:122], s[36:37], v[169:170]
	v_fma_f64 v[171:172], v[123:124], s[36:37], -v[171:172]
	v_add_f64 v[129:130], v[129:130], v[133:134]
	v_add_f64 v[131:132], v[131:132], v[135:136]
	v_mul_f64 v[133:134], v[185:186], s[44:45]
	v_mul_f64 v[135:136], v[187:188], s[44:45]
	v_add_f64 v[137:138], v[173:174], v[137:138]
	v_add_f64 v[139:140], v[175:176], v[139:140]
	v_add_f64 v[173:174], v[155:156], -v[159:160]
	v_add_f64 v[175:176], v[153:154], -v[157:158]
	v_add_f64 v[153:154], v[153:154], v[157:158]
	v_add_f64 v[155:156], v[155:156], v[159:160]
	v_fma_f64 v[185:186], v[121:122], s[16:17], -v[133:134]
	v_fma_f64 v[187:188], v[123:124], s[16:17], v[135:136]
	v_fma_f64 v[121:122], v[121:122], s[16:17], v[133:134]
	v_fma_f64 v[123:124], v[123:124], s[16:17], -v[135:136]
	v_mul_f64 v[157:158], v[173:174], s[26:27]
	v_mul_f64 v[159:160], v[175:176], s[26:27]
	v_add_f64 v[133:134], v[169:170], v[161:162]
	v_add_f64 v[135:136], v[171:172], v[163:164]
	;; [unrolled: 1-line block ×6, first 2 shown]
	v_fma_f64 v[169:170], v[153:154], s[28:29], -v[157:158]
	v_fma_f64 v[171:172], v[155:156], s[28:29], v[159:160]
	v_mul_f64 v[121:122], v[173:174], s[30:31]
	v_mul_f64 v[123:124], v[175:176], s[30:31]
	v_fma_f64 v[157:158], v[153:154], s[28:29], v[157:158]
	v_fma_f64 v[159:160], v[155:156], s[28:29], -v[159:160]
	v_add_f64 v[181:182], v[193:194], v[181:182]
	v_add_f64 v[183:184], v[195:196], v[183:184]
	;; [unrolled: 1-line block ×4, first 2 shown]
	v_mul_f64 v[169:170], v[173:174], s[14:15]
	v_mul_f64 v[171:172], v[175:176], s[14:15]
	v_fma_f64 v[185:186], v[153:154], s[12:13], -v[121:122]
	v_fma_f64 v[187:188], v[155:156], s[12:13], v[123:124]
	v_add_f64 v[141:142], v[157:158], v[141:142]
	v_add_f64 v[143:144], v[159:160], v[143:144]
	v_fma_f64 v[121:122], v[153:154], s[12:13], v[121:122]
	v_fma_f64 v[123:124], v[155:156], s[12:13], -v[123:124]
	v_fma_f64 v[157:158], v[153:154], s[16:17], -v[169:170]
	v_fma_f64 v[159:160], v[155:156], s[16:17], v[171:172]
	v_add_f64 v[177:178], v[185:186], v[177:178]
	v_add_f64 v[179:180], v[187:188], v[179:180]
	v_mul_f64 v[185:186], v[173:174], s[46:47]
	v_mul_f64 v[187:188], v[175:176], s[46:47]
	v_add_f64 v[121:122], v[121:122], v[125:126]
	v_add_f64 v[123:124], v[123:124], v[127:128]
	;; [unrolled: 1-line block ×4, first 2 shown]
	v_fma_f64 v[145:146], v[153:154], s[16:17], v[169:170]
	v_fma_f64 v[147:148], v[155:156], s[16:17], -v[171:172]
	v_fma_f64 v[157:158], v[153:154], s[36:37], -v[185:186]
	v_fma_f64 v[159:160], v[155:156], s[36:37], v[187:188]
	v_mul_f64 v[169:170], v[173:174], s[42:43]
	v_mul_f64 v[171:172], v[175:176], s[42:43]
	v_fma_f64 v[185:186], v[153:154], s[36:37], v[185:186]
	v_fma_f64 v[187:188], v[155:156], s[36:37], -v[187:188]
	v_add_f64 v[145:146], v[145:146], v[149:150]
	v_add_f64 v[147:148], v[147:148], v[151:152]
	;; [unrolled: 1-line block ×4, first 2 shown]
	v_fma_f64 v[157:158], v[153:154], s[20:21], -v[169:170]
	v_fma_f64 v[159:160], v[155:156], s[20:21], v[171:172]
	v_add_f64 v[181:182], v[185:186], v[129:130]
	v_add_f64 v[183:184], v[187:188], v[131:132]
	v_fma_f64 v[129:130], v[153:154], s[20:21], v[169:170]
	v_fma_f64 v[131:132], v[155:156], s[20:21], -v[171:172]
	v_mul_f64 v[169:170], v[173:174], s[18:19]
	v_mul_f64 v[171:172], v[175:176], s[18:19]
	v_add_f64 v[157:158], v[157:158], v[137:138]
	v_add_f64 v[159:160], v[159:160], v[139:140]
	v_add_f64 v[137:138], v[106:107], -v[110:111]
	v_add_f64 v[139:140], v[104:105], -v[108:109]
	v_add_f64 v[185:186], v[104:105], v[108:109]
	v_add_f64 v[187:188], v[106:107], v[110:111]
	;; [unrolled: 1-line block ×4, first 2 shown]
	v_fma_f64 v[129:130], v[153:154], s[22:23], -v[169:170]
	v_fma_f64 v[131:132], v[155:156], s[22:23], v[171:172]
	v_mul_f64 v[104:105], v[137:138], s[34:35]
	v_mul_f64 v[106:107], v[139:140], s[34:35]
	v_fma_f64 v[108:109], v[153:154], s[22:23], v[169:170]
	v_fma_f64 v[110:111], v[155:156], s[22:23], -v[171:172]
	v_add_f64 v[153:154], v[129:130], v[161:162]
	v_add_f64 v[155:156], v[131:132], v[163:164]
	v_fma_f64 v[133:134], v[185:186], s[36:37], -v[104:105]
	v_fma_f64 v[135:136], v[187:188], s[36:37], v[106:107]
	v_add_f64 v[161:162], v[108:109], v[117:118]
	v_add_f64 v[163:164], v[110:111], v[119:120]
	v_fma_f64 v[108:109], v[185:186], s[36:37], v[104:105]
	v_fma_f64 v[110:111], v[187:188], s[36:37], -v[106:107]
	v_mul_f64 v[129:130], v[137:138], s[42:43]
	v_mul_f64 v[131:132], v[139:140], s[42:43]
	v_add_f64 v[104:105], v[133:134], v[165:166]
	v_add_f64 v[106:107], v[135:136], v[167:168]
	v_mul_f64 v[133:134], v[137:138], s[26:27]
	v_mul_f64 v[135:136], v[139:140], s[26:27]
	v_add_f64 v[108:109], v[108:109], v[141:142]
	v_add_f64 v[110:111], v[110:111], v[143:144]
	v_mul_f64 v[165:166], v[137:138], s[44:45]
	v_mul_f64 v[167:168], v[139:140], s[44:45]
	v_fma_f64 v[117:118], v[185:186], s[20:21], -v[129:130]
	v_fma_f64 v[119:120], v[187:188], s[20:21], v[131:132]
	v_fma_f64 v[141:142], v[185:186], s[28:29], -v[133:134]
	v_fma_f64 v[143:144], v[187:188], s[28:29], v[135:136]
	v_fma_f64 v[129:130], v[185:186], s[20:21], v[129:130]
	v_fma_f64 v[131:132], v[187:188], s[20:21], -v[131:132]
	v_fma_f64 v[133:134], v[185:186], s[28:29], v[133:134]
	v_fma_f64 v[135:136], v[187:188], s[28:29], -v[135:136]
	v_add_f64 v[117:118], v[117:118], v[177:178]
	v_add_f64 v[119:120], v[119:120], v[179:180]
	;; [unrolled: 1-line block ×4, first 2 shown]
	v_fma_f64 v[141:142], v[185:186], s[16:17], -v[165:166]
	v_fma_f64 v[143:144], v[187:188], s[16:17], v[167:168]
	v_add_f64 v[121:122], v[129:130], v[121:122]
	v_add_f64 v[123:124], v[131:132], v[123:124]
	;; [unrolled: 1-line block ×4, first 2 shown]
	v_fma_f64 v[145:146], v[185:186], s[16:17], v[165:166]
	v_fma_f64 v[147:148], v[187:188], s[16:17], -v[167:168]
	v_mul_f64 v[165:166], v[137:138], s[18:19]
	v_mul_f64 v[167:168], v[139:140], s[18:19]
	v_add_f64 v[133:134], v[141:142], v[149:150]
	v_add_f64 v[135:136], v[143:144], v[151:152]
	v_mul_f64 v[141:142], v[137:138], s[30:31]
	v_mul_f64 v[143:144], v[139:140], s[30:31]
	v_add_f64 v[137:138], v[145:146], v[181:182]
	v_add_f64 v[139:140], v[147:148], v[183:184]
	v_fma_f64 v[145:146], v[185:186], s[22:23], -v[165:166]
	v_fma_f64 v[147:148], v[187:188], s[22:23], v[167:168]
	v_fma_f64 v[149:150], v[185:186], s[22:23], v[165:166]
	v_fma_f64 v[151:152], v[187:188], s[22:23], -v[167:168]
	v_fma_f64 v[165:166], v[185:186], s[12:13], -v[141:142]
	v_fma_f64 v[167:168], v[187:188], s[12:13], v[143:144]
	v_fma_f64 v[169:170], v[185:186], s[12:13], v[141:142]
	v_fma_f64 v[171:172], v[187:188], s[12:13], -v[143:144]
	v_add_f64 v[141:142], v[145:146], v[157:158]
	v_add_f64 v[143:144], v[147:148], v[159:160]
	;; [unrolled: 1-line block ×8, first 2 shown]
	ds_write_b128 v114, v[100:103]
	ds_write_b128 v114, v[104:107] offset:208
	ds_write_b128 v114, v[117:120] offset:416
	;; [unrolled: 1-line block ×12, first 2 shown]
	s_waitcnt lgkmcnt(0)
	s_barrier
	global_load_dwordx4 v[100:103], v115, s[8:9] offset:2704
	global_load_dwordx4 v[104:107], v115, s[48:49] offset:208
	;; [unrolled: 1-line block ×13, first 2 shown]
	ds_read_b128 v[157:160], v114
	ds_read_b128 v[161:164], v114 offset:208
	ds_read_b128 v[169:172], v114 offset:832
	;; [unrolled: 1-line block ×3, first 2 shown]
	s_waitcnt vmcnt(12) lgkmcnt(3)
	v_mul_f64 v[165:166], v[159:160], v[102:103]
	v_mul_f64 v[102:103], v[157:158], v[102:103]
	s_waitcnt vmcnt(11) lgkmcnt(2)
	v_mul_f64 v[177:178], v[163:164], v[106:107]
	v_mul_f64 v[106:107], v[161:162], v[106:107]
	;; [unrolled: 3-line block ×3, first 2 shown]
	v_fma_f64 v[157:158], v[157:158], v[100:101], -v[165:166]
	ds_read_b128 v[165:168], v114 offset:416
	v_fma_f64 v[159:160], v[159:160], v[100:101], v[102:103]
	ds_read_b128 v[100:103], v114 offset:624
	v_fma_f64 v[161:162], v[161:162], v[104:105], -v[177:178]
	v_fma_f64 v[163:164], v[163:164], v[104:105], v[106:107]
	s_waitcnt lgkmcnt(1)
	v_mul_f64 v[179:180], v[167:168], v[110:111]
	v_mul_f64 v[110:111], v[165:166], v[110:111]
	s_waitcnt lgkmcnt(0)
	v_mul_f64 v[181:182], v[102:103], v[119:120]
	v_mul_f64 v[119:120], v[100:101], v[119:120]
	v_fma_f64 v[104:105], v[165:166], v[108:109], -v[179:180]
	v_fma_f64 v[106:107], v[167:168], v[108:109], v[110:111]
	v_fma_f64 v[100:101], v[100:101], v[117:118], -v[181:182]
	v_fma_f64 v[102:103], v[102:103], v[117:118], v[119:120]
	;; [unrolled: 2-line block ×3, first 2 shown]
	ds_write_b128 v114, v[157:160]
	ds_write_b128 v114, v[161:164] offset:208
	ds_write_b128 v114, v[104:107] offset:416
	;; [unrolled: 1-line block ×3, first 2 shown]
	ds_read_b128 v[100:103], v114 offset:1248
	ds_read_b128 v[104:107], v114 offset:1456
	s_waitcnt vmcnt(7)
	v_mul_f64 v[121:122], v[175:176], v[127:128]
	v_mul_f64 v[123:124], v[173:174], v[127:128]
	ds_write_b128 v114, v[108:111] offset:832
	ds_read_b128 v[108:111], v114 offset:1664
	ds_read_b128 v[117:120], v114 offset:1872
	s_waitcnt vmcnt(6) lgkmcnt(4)
	v_mul_f64 v[127:128], v[102:103], v[131:132]
	v_mul_f64 v[131:132], v[100:101], v[131:132]
	s_waitcnt vmcnt(5) lgkmcnt(3)
	v_mul_f64 v[157:158], v[106:107], v[135:136]
	v_mul_f64 v[135:136], v[104:105], v[135:136]
	s_waitcnt vmcnt(4) lgkmcnt(1)
	v_mul_f64 v[159:160], v[110:111], v[139:140]
	v_mul_f64 v[139:140], v[108:109], v[139:140]
	v_fma_f64 v[121:122], v[173:174], v[125:126], -v[121:122]
	v_fma_f64 v[123:124], v[175:176], v[125:126], v[123:124]
	v_fma_f64 v[100:101], v[100:101], v[129:130], -v[127:128]
	ds_read_b128 v[125:128], v114 offset:2080
	v_fma_f64 v[102:103], v[102:103], v[129:130], v[131:132]
	ds_read_b128 v[129:132], v114 offset:2288
	v_fma_f64 v[104:105], v[104:105], v[133:134], -v[157:158]
	v_fma_f64 v[106:107], v[106:107], v[133:134], v[135:136]
	ds_read_b128 v[133:136], v114 offset:2496
	v_fma_f64 v[108:109], v[108:109], v[137:138], -v[159:160]
	v_fma_f64 v[110:111], v[110:111], v[137:138], v[139:140]
	s_waitcnt vmcnt(3) lgkmcnt(3)
	v_mul_f64 v[137:138], v[119:120], v[143:144]
	v_mul_f64 v[139:140], v[117:118], v[143:144]
	s_waitcnt vmcnt(2) lgkmcnt(2)
	v_mul_f64 v[143:144], v[127:128], v[147:148]
	v_mul_f64 v[147:148], v[125:126], v[147:148]
	;; [unrolled: 3-line block ×4, first 2 shown]
	v_fma_f64 v[117:118], v[117:118], v[141:142], -v[137:138]
	v_fma_f64 v[119:120], v[119:120], v[141:142], v[139:140]
	v_fma_f64 v[125:126], v[125:126], v[145:146], -v[143:144]
	v_fma_f64 v[127:128], v[127:128], v[145:146], v[147:148]
	;; [unrolled: 2-line block ×4, first 2 shown]
	ds_write_b128 v114, v[121:124] offset:1040
	ds_write_b128 v114, v[100:103] offset:1248
	;; [unrolled: 1-line block ×8, first 2 shown]
	s_waitcnt lgkmcnt(0)
	s_barrier
	ds_read_b128 v[117:120], v114
	ds_read_b128 v[100:103], v114 offset:208
	ds_read_b128 v[121:124], v114 offset:416
	ds_read_b128 v[125:128], v114 offset:624
	ds_read_b128 v[129:132], v114 offset:832
	ds_read_b128 v[133:136], v114 offset:1040
	s_waitcnt lgkmcnt(4)
	v_add_f64 v[104:105], v[117:118], v[100:101]
	v_add_f64 v[106:107], v[119:120], v[102:103]
	s_waitcnt lgkmcnt(3)
	v_add_f64 v[104:105], v[104:105], v[121:122]
	v_add_f64 v[106:107], v[106:107], v[123:124]
	s_waitcnt lgkmcnt(2)
	v_add_f64 v[104:105], v[104:105], v[125:126]
	v_add_f64 v[106:107], v[106:107], v[127:128]
	s_waitcnt lgkmcnt(1)
	v_add_f64 v[104:105], v[104:105], v[129:130]
	v_add_f64 v[106:107], v[106:107], v[131:132]
	s_waitcnt lgkmcnt(0)
	v_add_f64 v[137:138], v[104:105], v[133:134]
	v_add_f64 v[139:140], v[106:107], v[135:136]
	ds_read_b128 v[104:107], v114 offset:1248
	ds_read_b128 v[108:111], v114 offset:1456
	s_waitcnt lgkmcnt(1)
	v_add_f64 v[137:138], v[137:138], v[104:105]
	v_add_f64 v[139:140], v[139:140], v[106:107]
	s_waitcnt lgkmcnt(0)
	v_add_f64 v[145:146], v[137:138], v[108:109]
	v_add_f64 v[147:148], v[139:140], v[110:111]
	ds_read_b128 v[137:140], v114 offset:1664
	ds_read_b128 v[141:144], v114 offset:1872
	;; [unrolled: 1-line block ×3, first 2 shown]
	s_waitcnt lgkmcnt(2)
	v_add_f64 v[149:150], v[145:146], v[137:138]
	v_add_f64 v[151:152], v[147:148], v[139:140]
	ds_read_b128 v[145:148], v114 offset:2496
	s_waitcnt lgkmcnt(1)
	v_add_f64 v[201:202], v[123:124], -v[155:156]
	v_add_f64 v[123:124], v[123:124], v[155:156]
	s_waitcnt lgkmcnt(0)
	v_add_f64 v[161:162], v[102:103], -v[147:148]
	v_add_f64 v[157:158], v[149:150], v[141:142]
	v_add_f64 v[159:160], v[151:152], v[143:144]
	ds_read_b128 v[149:152], v114 offset:2080
	v_add_f64 v[163:164], v[102:103], v[147:148]
	v_add_f64 v[165:166], v[100:101], -v[145:146]
	v_mul_f64 v[203:204], v[123:124], s[16:17]
	s_waitcnt lgkmcnt(0)
	v_mul_f64 v[167:168], v[161:162], s[24:25]
	v_add_f64 v[102:103], v[157:158], v[149:150]
	v_add_f64 v[157:158], v[159:160], v[151:152]
	;; [unrolled: 1-line block ×3, first 2 shown]
	v_mul_f64 v[169:170], v[163:164], s[20:21]
	v_mul_f64 v[173:174], v[161:162], s[6:7]
	v_mul_f64 v[175:176], v[163:164], s[12:13]
	v_mul_f64 v[185:186], v[161:162], s[18:19]
	v_mul_f64 v[187:188], v[163:164], s[22:23]
	v_add_f64 v[100:101], v[102:103], v[153:154]
	v_add_f64 v[102:103], v[157:158], v[155:156]
	v_mul_f64 v[189:190], v[161:162], s[26:27]
	v_mul_f64 v[191:192], v[163:164], s[28:29]
	;; [unrolled: 1-line block ×3, first 2 shown]
	v_fma_f64 v[157:158], v[159:160], s[20:21], v[167:168]
	v_fma_f64 v[171:172], v[165:166], s[42:43], v[169:170]
	v_fma_f64 v[167:168], v[159:160], s[20:21], -v[167:168]
	v_add_f64 v[100:101], v[100:101], v[145:146]
	v_add_f64 v[102:103], v[102:103], v[147:148]
	v_mul_f64 v[145:146], v[161:162], s[14:15]
	v_mul_f64 v[147:148], v[163:164], s[16:17]
	;; [unrolled: 1-line block ×3, first 2 shown]
	v_fma_f64 v[169:170], v[165:166], s[24:25], v[169:170]
	v_fma_f64 v[181:182], v[159:160], s[12:13], v[173:174]
	v_fma_f64 v[183:184], v[165:166], s[30:31], v[175:176]
	v_fma_f64 v[173:174], v[159:160], s[12:13], -v[173:174]
	v_fma_f64 v[175:176], v[165:166], s[6:7], v[175:176]
	v_fma_f64 v[177:178], v[159:160], s[16:17], v[145:146]
	v_fma_f64 v[179:180], v[165:166], s[44:45], v[147:148]
	v_fma_f64 v[145:146], v[159:160], s[16:17], -v[145:146]
	;; [unrolled: 4-line block ×4, first 2 shown]
	v_fma_f64 v[189:190], v[165:166], s[26:27], v[191:192]
	v_add_f64 v[191:192], v[121:122], v[153:154]
	v_add_f64 v[121:122], v[121:122], -v[153:154]
	v_mul_f64 v[153:154], v[201:202], s[14:15]
	v_fma_f64 v[205:206], v[159:160], s[36:37], v[155:156]
	v_fma_f64 v[207:208], v[165:166], s[46:47], v[161:162]
	v_fma_f64 v[155:156], v[159:160], s[36:37], -v[155:156]
	v_fma_f64 v[159:160], v[165:166], s[34:35], v[161:162]
	v_add_f64 v[157:158], v[117:118], v[157:158]
	v_add_f64 v[171:172], v[119:120], v[171:172]
	;; [unrolled: 1-line block ×20, first 2 shown]
	v_fma_f64 v[165:166], v[191:192], s[16:17], v[153:154]
	v_fma_f64 v[189:190], v[121:122], s[44:45], v[203:204]
	v_add_f64 v[205:206], v[117:118], v[205:206]
	v_add_f64 v[207:208], v[119:120], v[207:208]
	;; [unrolled: 1-line block ×4, first 2 shown]
	v_mul_f64 v[155:156], v[201:202], s[18:19]
	v_mul_f64 v[159:160], v[123:124], s[22:23]
	v_add_f64 v[157:158], v[165:166], v[157:158]
	v_add_f64 v[165:166], v[189:190], v[171:172]
	v_fma_f64 v[153:154], v[191:192], s[16:17], -v[153:154]
	v_fma_f64 v[171:172], v[121:122], s[14:15], v[203:204]
	v_mul_f64 v[189:190], v[201:202], s[34:35]
	v_mul_f64 v[203:204], v[123:124], s[36:37]
	v_fma_f64 v[209:210], v[191:192], s[22:23], v[155:156]
	v_fma_f64 v[211:212], v[121:122], s[40:41], v[159:160]
	v_fma_f64 v[155:156], v[191:192], s[22:23], -v[155:156]
	v_fma_f64 v[159:160], v[121:122], s[18:19], v[159:160]
	v_add_f64 v[153:154], v[153:154], v[167:168]
	v_add_f64 v[167:168], v[171:172], v[169:170]
	v_fma_f64 v[169:170], v[191:192], s[36:37], v[189:190]
	v_fma_f64 v[171:172], v[121:122], s[46:47], v[203:204]
	v_add_f64 v[177:178], v[209:210], v[177:178]
	v_add_f64 v[179:180], v[211:212], v[179:180]
	;; [unrolled: 1-line block ×4, first 2 shown]
	v_mul_f64 v[155:156], v[201:202], s[38:39]
	v_mul_f64 v[159:160], v[123:124], s[28:29]
	v_add_f64 v[169:170], v[169:170], v[181:182]
	v_add_f64 v[171:172], v[171:172], v[183:184]
	v_mul_f64 v[181:182], v[201:202], s[30:31]
	v_mul_f64 v[183:184], v[123:124], s[12:13]
	v_fma_f64 v[189:190], v[191:192], s[36:37], -v[189:190]
	v_fma_f64 v[203:204], v[121:122], s[34:35], v[203:204]
	v_fma_f64 v[209:210], v[191:192], s[28:29], v[155:156]
	;; [unrolled: 1-line block ×3, first 2 shown]
	v_fma_f64 v[155:156], v[191:192], s[28:29], -v[155:156]
	v_fma_f64 v[159:160], v[121:122], s[38:39], v[159:160]
	v_fma_f64 v[213:214], v[191:192], s[12:13], v[181:182]
	;; [unrolled: 1-line block ×3, first 2 shown]
	v_add_f64 v[173:174], v[189:190], v[173:174]
	v_mul_f64 v[123:124], v[123:124], s[20:21]
	v_add_f64 v[189:190], v[209:210], v[193:194]
	v_add_f64 v[193:194], v[211:212], v[195:196]
	v_add_f64 v[195:196], v[127:128], -v[151:152]
	v_add_f64 v[127:128], v[127:128], v[151:152]
	v_add_f64 v[155:156], v[155:156], v[185:186]
	;; [unrolled: 1-line block ×5, first 2 shown]
	v_mul_f64 v[151:152], v[201:202], s[42:43]
	v_fma_f64 v[181:182], v[191:192], s[12:13], -v[181:182]
	v_fma_f64 v[183:184], v[121:122], s[30:31], v[183:184]
	v_add_f64 v[197:198], v[125:126], v[149:150]
	v_add_f64 v[125:126], v[125:126], -v[149:150]
	v_mul_f64 v[149:150], v[195:196], s[6:7]
	v_mul_f64 v[199:200], v[127:128], s[12:13]
	v_add_f64 v[175:176], v[203:204], v[175:176]
	v_fma_f64 v[201:202], v[191:192], s[20:21], v[151:152]
	v_fma_f64 v[203:204], v[121:122], s[24:25], v[123:124]
	v_fma_f64 v[151:152], v[191:192], s[20:21], -v[151:152]
	v_fma_f64 v[121:122], v[121:122], s[42:43], v[123:124]
	v_add_f64 v[123:124], v[181:182], v[161:162]
	v_add_f64 v[161:162], v[183:184], v[163:164]
	v_fma_f64 v[163:164], v[197:198], s[12:13], v[149:150]
	v_fma_f64 v[181:182], v[125:126], s[30:31], v[199:200]
	v_fma_f64 v[149:150], v[197:198], s[12:13], -v[149:150]
	v_add_f64 v[183:184], v[201:202], v[205:206]
	v_add_f64 v[117:118], v[151:152], v[117:118]
	;; [unrolled: 1-line block ×3, first 2 shown]
	v_mul_f64 v[121:122], v[195:196], s[34:35]
	v_mul_f64 v[151:152], v[127:128], s[36:37]
	v_add_f64 v[157:158], v[163:164], v[157:158]
	v_add_f64 v[163:164], v[181:182], v[165:166]
	v_fma_f64 v[165:166], v[125:126], s[6:7], v[199:200]
	v_mul_f64 v[181:182], v[195:196], s[40:41]
	v_add_f64 v[191:192], v[203:204], v[207:208]
	v_mul_f64 v[199:200], v[127:128], s[22:23]
	v_fma_f64 v[201:202], v[197:198], s[36:37], v[121:122]
	v_fma_f64 v[203:204], v[125:126], s[46:47], v[151:152]
	v_fma_f64 v[121:122], v[197:198], s[36:37], -v[121:122]
	v_fma_f64 v[151:152], v[125:126], s[34:35], v[151:152]
	v_add_f64 v[149:150], v[149:150], v[153:154]
	v_add_f64 v[153:154], v[165:166], v[167:168]
	v_fma_f64 v[165:166], v[197:198], s[22:23], v[181:182]
	v_fma_f64 v[167:168], v[125:126], s[18:19], v[199:200]
	v_add_f64 v[177:178], v[201:202], v[177:178]
	v_add_f64 v[179:180], v[203:204], v[179:180]
	;; [unrolled: 1-line block ×4, first 2 shown]
	v_mul_f64 v[147:148], v[195:196], s[42:43]
	v_mul_f64 v[151:152], v[127:128], s[20:21]
	v_add_f64 v[165:166], v[165:166], v[169:170]
	v_mul_f64 v[169:170], v[195:196], s[14:15]
	v_add_f64 v[167:168], v[167:168], v[171:172]
	v_mul_f64 v[171:172], v[127:128], s[16:17]
	v_fma_f64 v[181:182], v[197:198], s[22:23], -v[181:182]
	v_fma_f64 v[199:200], v[125:126], s[40:41], v[199:200]
	v_fma_f64 v[201:202], v[197:198], s[20:21], v[147:148]
	v_fma_f64 v[147:148], v[197:198], s[20:21], -v[147:148]
	v_fma_f64 v[203:204], v[125:126], s[24:25], v[151:152]
	v_fma_f64 v[205:206], v[197:198], s[16:17], v[169:170]
	;; [unrolled: 1-line block ×4, first 2 shown]
	v_add_f64 v[173:174], v[181:182], v[173:174]
	v_mul_f64 v[127:128], v[127:128], s[28:29]
	v_add_f64 v[181:182], v[201:202], v[189:190]
	v_add_f64 v[147:148], v[147:148], v[155:156]
	;; [unrolled: 1-line block ×4, first 2 shown]
	v_add_f64 v[185:186], v[131:132], -v[143:144]
	v_add_f64 v[131:132], v[131:132], v[143:144]
	v_add_f64 v[151:152], v[151:152], v[159:160]
	;; [unrolled: 1-line block ×3, first 2 shown]
	v_mul_f64 v[143:144], v[195:196], s[26:27]
	v_fma_f64 v[169:170], v[197:198], s[16:17], -v[169:170]
	v_fma_f64 v[171:172], v[125:126], s[14:15], v[171:172]
	v_add_f64 v[187:188], v[129:130], v[141:142]
	v_add_f64 v[129:130], v[129:130], -v[141:142]
	v_mul_f64 v[141:142], v[185:186], s[18:19]
	v_mul_f64 v[193:194], v[131:132], s[22:23]
	v_add_f64 v[175:176], v[199:200], v[175:176]
	v_fma_f64 v[195:196], v[197:198], s[28:29], v[143:144]
	v_fma_f64 v[199:200], v[125:126], s[38:39], v[127:128]
	v_fma_f64 v[143:144], v[197:198], s[28:29], -v[143:144]
	v_fma_f64 v[125:126], v[125:126], s[26:27], v[127:128]
	v_add_f64 v[123:124], v[169:170], v[123:124]
	v_add_f64 v[127:128], v[171:172], v[161:162]
	v_fma_f64 v[161:162], v[187:188], s[22:23], v[141:142]
	v_fma_f64 v[169:170], v[129:130], s[40:41], v[193:194]
	v_add_f64 v[171:172], v[195:196], v[183:184]
	v_add_f64 v[183:184], v[199:200], v[191:192]
	;; [unrolled: 1-line block ×4, first 2 shown]
	v_mul_f64 v[125:126], v[185:186], s[38:39]
	v_mul_f64 v[143:144], v[131:132], s[28:29]
	v_add_f64 v[157:158], v[161:162], v[157:158]
	v_add_f64 v[161:162], v[169:170], v[163:164]
	v_fma_f64 v[141:142], v[187:188], s[22:23], -v[141:142]
	v_fma_f64 v[163:164], v[129:130], s[18:19], v[193:194]
	v_mul_f64 v[169:170], v[185:186], s[42:43]
	v_mul_f64 v[191:192], v[131:132], s[20:21]
	v_fma_f64 v[193:194], v[187:188], s[28:29], v[125:126]
	v_fma_f64 v[195:196], v[129:130], s[26:27], v[143:144]
	v_fma_f64 v[125:126], v[187:188], s[28:29], -v[125:126]
	v_fma_f64 v[143:144], v[129:130], s[38:39], v[143:144]
	v_add_f64 v[141:142], v[141:142], v[149:150]
	v_add_f64 v[149:150], v[163:164], v[153:154]
	v_fma_f64 v[153:154], v[187:188], s[20:21], v[169:170]
	v_fma_f64 v[163:164], v[129:130], s[24:25], v[191:192]
	v_add_f64 v[177:178], v[193:194], v[177:178]
	v_add_f64 v[179:180], v[195:196], v[179:180]
	;; [unrolled: 1-line block ×4, first 2 shown]
	v_mul_f64 v[143:144], v[185:186], s[6:7]
	v_mul_f64 v[145:146], v[131:132], s[12:13]
	v_add_f64 v[153:154], v[153:154], v[165:166]
	v_add_f64 v[163:164], v[163:164], v[167:168]
	v_fma_f64 v[165:166], v[187:188], s[20:21], -v[169:170]
	v_fma_f64 v[167:168], v[129:130], s[42:43], v[191:192]
	v_mul_f64 v[169:170], v[185:186], s[46:47]
	v_mul_f64 v[191:192], v[131:132], s[36:37]
	v_fma_f64 v[193:194], v[187:188], s[12:13], v[143:144]
	v_fma_f64 v[195:196], v[129:130], s[30:31], v[145:146]
	v_fma_f64 v[143:144], v[187:188], s[12:13], -v[143:144]
	v_fma_f64 v[145:146], v[129:130], s[6:7], v[145:146]
	v_add_f64 v[165:166], v[165:166], v[173:174]
	v_add_f64 v[167:168], v[167:168], v[175:176]
	v_fma_f64 v[173:174], v[187:188], s[36:37], v[169:170]
	v_fma_f64 v[175:176], v[129:130], s[34:35], v[191:192]
	v_mul_f64 v[131:132], v[131:132], s[16:17]
	v_add_f64 v[189:190], v[195:196], v[189:190]
	v_add_f64 v[143:144], v[143:144], v[147:148]
	;; [unrolled: 1-line block ×3, first 2 shown]
	v_mul_f64 v[147:148], v[185:186], s[44:45]
	v_add_f64 v[185:186], v[133:134], v[137:138]
	v_add_f64 v[151:152], v[173:174], v[155:156]
	;; [unrolled: 1-line block ×3, first 2 shown]
	v_add_f64 v[159:160], v[135:136], -v[139:140]
	v_add_f64 v[135:136], v[135:136], v[139:140]
	v_fma_f64 v[139:140], v[187:188], s[36:37], -v[169:170]
	v_fma_f64 v[169:170], v[129:130], s[46:47], v[191:192]
	v_fma_f64 v[173:174], v[187:188], s[16:17], v[147:148]
	;; [unrolled: 1-line block ×3, first 2 shown]
	v_add_f64 v[133:134], v[133:134], -v[137:138]
	v_fma_f64 v[147:148], v[187:188], s[16:17], -v[147:148]
	v_mul_f64 v[137:138], v[159:160], s[26:27]
	v_mul_f64 v[191:192], v[135:136], s[28:29]
	v_fma_f64 v[129:130], v[129:130], s[44:45], v[131:132]
	v_add_f64 v[127:128], v[169:170], v[127:128]
	v_add_f64 v[131:132], v[173:174], v[171:172]
	;; [unrolled: 1-line block ×5, first 2 shown]
	v_fma_f64 v[169:170], v[185:186], s[28:29], v[137:138]
	v_fma_f64 v[171:172], v[133:134], s[38:39], v[191:192]
	v_add_f64 v[119:120], v[129:130], v[119:120]
	v_mul_f64 v[129:130], v[159:160], s[30:31]
	v_mul_f64 v[147:148], v[135:136], s[12:13]
	v_fma_f64 v[137:138], v[185:186], s[28:29], -v[137:138]
	v_fma_f64 v[173:174], v[133:134], s[26:27], v[191:192]
	v_add_f64 v[181:182], v[193:194], v[181:182]
	v_add_f64 v[157:158], v[169:170], v[157:158]
	;; [unrolled: 1-line block ×3, first 2 shown]
	v_mul_f64 v[169:170], v[159:160], s[14:15]
	v_mul_f64 v[171:172], v[135:136], s[16:17]
	v_fma_f64 v[175:176], v[185:186], s[12:13], v[129:130]
	v_fma_f64 v[183:184], v[133:134], s[6:7], v[147:148]
	v_add_f64 v[137:138], v[137:138], v[141:142]
	v_add_f64 v[141:142], v[173:174], v[149:150]
	v_fma_f64 v[129:130], v[185:186], s[12:13], -v[129:130]
	v_fma_f64 v[147:148], v[133:134], s[30:31], v[147:148]
	v_fma_f64 v[149:150], v[185:186], s[16:17], v[169:170]
	;; [unrolled: 1-line block ×3, first 2 shown]
	v_add_f64 v[175:176], v[175:176], v[177:178]
	v_add_f64 v[177:178], v[183:184], v[179:180]
	v_mul_f64 v[183:184], v[135:136], s[36:37]
	v_mul_f64 v[179:180], v[159:160], s[46:47]
	v_add_f64 v[121:122], v[129:130], v[121:122]
	v_add_f64 v[125:126], v[147:148], v[125:126]
	;; [unrolled: 1-line block ×4, first 2 shown]
	v_fma_f64 v[149:150], v[185:186], s[16:17], -v[169:170]
	v_fma_f64 v[153:154], v[133:134], s[14:15], v[171:172]
	v_fma_f64 v[169:170], v[133:134], s[34:35], v[183:184]
	v_mul_f64 v[171:172], v[159:160], s[42:43]
	v_mul_f64 v[173:174], v[135:136], s[20:21]
	;; [unrolled: 1-line block ×3, first 2 shown]
	v_fma_f64 v[163:164], v[185:186], s[36:37], v[179:180]
	v_fma_f64 v[179:180], v[185:186], s[36:37], -v[179:180]
	v_add_f64 v[149:150], v[149:150], v[165:166]
	v_add_f64 v[153:154], v[153:154], v[167:168]
	v_add_f64 v[165:166], v[169:170], v[189:190]
	v_fma_f64 v[167:168], v[185:186], s[20:21], v[171:172]
	v_fma_f64 v[169:170], v[133:134], s[24:25], v[173:174]
	v_fma_f64 v[171:172], v[185:186], s[20:21], -v[171:172]
	v_fma_f64 v[173:174], v[133:134], s[42:43], v[173:174]
	v_mul_f64 v[135:136], v[135:136], s[22:23]
	v_fma_f64 v[183:184], v[133:134], s[46:47], v[183:184]
	v_add_f64 v[163:164], v[163:164], v[181:182]
	v_add_f64 v[143:144], v[179:180], v[143:144]
	;; [unrolled: 1-line block ×4, first 2 shown]
	v_add_f64 v[167:168], v[106:107], -v[110:111]
	v_add_f64 v[169:170], v[106:107], v[110:111]
	v_fma_f64 v[106:107], v[185:186], s[22:23], v[159:160]
	v_add_f64 v[171:172], v[171:172], v[123:124]
	v_add_f64 v[173:174], v[173:174], v[127:128]
	v_fma_f64 v[110:111], v[133:134], s[40:41], v[135:136]
	v_add_f64 v[179:180], v[104:105], v[108:109]
	v_add_f64 v[181:182], v[104:105], -v[108:109]
	v_mul_f64 v[104:105], v[167:168], s[34:35]
	v_mul_f64 v[108:109], v[169:170], s[36:37]
	v_fma_f64 v[123:124], v[185:186], s[22:23], -v[159:160]
	v_fma_f64 v[127:128], v[133:134], s[18:19], v[135:136]
	v_add_f64 v[159:160], v[106:107], v[131:132]
	v_mul_f64 v[131:132], v[167:168], s[42:43]
	v_mul_f64 v[133:134], v[169:170], s[20:21]
	v_add_f64 v[145:146], v[183:184], v[145:146]
	v_add_f64 v[183:184], v[110:111], v[139:140]
	v_fma_f64 v[106:107], v[179:180], s[36:37], v[104:105]
	v_fma_f64 v[110:111], v[181:182], s[46:47], v[108:109]
	v_add_f64 v[185:186], v[123:124], v[117:118]
	v_add_f64 v[187:188], v[127:128], v[119:120]
	v_fma_f64 v[117:118], v[179:180], s[36:37], -v[104:105]
	v_fma_f64 v[119:120], v[181:182], s[34:35], v[108:109]
	v_fma_f64 v[123:124], v[179:180], s[20:21], v[131:132]
	;; [unrolled: 1-line block ×3, first 2 shown]
	v_mul_f64 v[139:140], v[169:170], s[28:29]
	v_mul_f64 v[135:136], v[167:168], s[26:27]
	v_add_f64 v[104:105], v[106:107], v[157:158]
	v_add_f64 v[106:107], v[110:111], v[161:162]
	;; [unrolled: 1-line block ×6, first 2 shown]
	v_fma_f64 v[123:124], v[179:180], s[20:21], -v[131:132]
	v_fma_f64 v[127:128], v[181:182], s[42:43], v[133:134]
	v_fma_f64 v[133:134], v[181:182], s[38:39], v[139:140]
	v_mul_f64 v[141:142], v[169:170], s[16:17]
	v_fma_f64 v[131:132], v[179:180], s[28:29], v[135:136]
	v_mul_f64 v[137:138], v[167:168], s[44:45]
	v_fma_f64 v[135:136], v[179:180], s[28:29], -v[135:136]
	v_fma_f64 v[139:140], v[181:182], s[26:27], v[139:140]
	v_add_f64 v[121:122], v[123:124], v[121:122]
	v_add_f64 v[123:124], v[127:128], v[125:126]
	;; [unrolled: 1-line block ×3, first 2 shown]
	v_fma_f64 v[147:148], v[181:182], s[14:15], v[141:142]
	v_add_f64 v[125:126], v[131:132], v[129:130]
	v_fma_f64 v[133:134], v[179:180], s[16:17], v[137:138]
	v_add_f64 v[129:130], v[135:136], v[149:150]
	v_add_f64 v[131:132], v[139:140], v[153:154]
	v_fma_f64 v[137:138], v[179:180], s[16:17], -v[137:138]
	v_fma_f64 v[139:140], v[181:182], s[44:45], v[141:142]
	v_mul_f64 v[141:142], v[167:168], s[18:19]
	v_mul_f64 v[149:150], v[169:170], s[22:23]
	v_add_f64 v[135:136], v[147:148], v[165:166]
	v_mul_f64 v[147:148], v[167:168], s[30:31]
	v_mul_f64 v[153:154], v[169:170], s[12:13]
	v_add_f64 v[133:134], v[133:134], v[163:164]
	v_add_f64 v[137:138], v[137:138], v[143:144]
	;; [unrolled: 1-line block ×3, first 2 shown]
	v_fma_f64 v[143:144], v[179:180], s[22:23], v[141:142]
	v_fma_f64 v[145:146], v[181:182], s[40:41], v[149:150]
	v_fma_f64 v[149:150], v[181:182], s[18:19], v[149:150]
	v_fma_f64 v[161:162], v[179:180], s[12:13], v[147:148]
	v_fma_f64 v[163:164], v[181:182], s[6:7], v[153:154]
	v_fma_f64 v[165:166], v[179:180], s[12:13], -v[147:148]
	v_fma_f64 v[167:168], v[181:182], s[30:31], v[153:154]
	v_fma_f64 v[157:158], v[179:180], s[22:23], -v[141:142]
	v_add_f64 v[141:142], v[143:144], v[151:152]
	v_add_f64 v[143:144], v[145:146], v[155:156]
	;; [unrolled: 1-line block ×8, first 2 shown]
	s_barrier
	ds_write_b128 v116, v[100:103]
	ds_write_b128 v116, v[104:107] offset:16
	ds_write_b128 v116, v[117:120] offset:32
	;; [unrolled: 1-line block ×12, first 2 shown]
	s_waitcnt lgkmcnt(0)
	s_barrier
	ds_read_b128 v[100:103], v114 offset:208
	ds_read_b128 v[104:107], v114 offset:416
	;; [unrolled: 1-line block ×3, first 2 shown]
	s_waitcnt lgkmcnt(2)
	v_mul_f64 v[115:116], v[86:87], v[102:103]
	v_mul_f64 v[86:87], v[86:87], v[100:101]
	s_waitcnt lgkmcnt(1)
	v_mul_f64 v[117:118], v[82:83], v[106:107]
	v_mul_f64 v[119:120], v[82:83], v[104:105]
	v_fma_f64 v[115:116], v[84:85], v[100:101], v[115:116]
	v_fma_f64 v[86:87], v[84:85], v[102:103], -v[86:87]
	ds_read_b128 v[82:85], v114
	v_fma_f64 v[117:118], v[80:81], v[104:105], v[117:118]
	v_fma_f64 v[80:81], v[80:81], v[106:107], -v[119:120]
	s_waitcnt lgkmcnt(1)
	v_mul_f64 v[119:120], v[58:59], v[110:111]
	v_mul_f64 v[58:59], v[58:59], v[108:109]
	ds_read_b128 v[100:103], v114 offset:832
	ds_read_b128 v[104:107], v114 offset:1040
	s_waitcnt lgkmcnt(2)
	v_add_f64 v[121:122], v[82:83], v[115:116]
	v_add_f64 v[123:124], v[84:85], v[86:87]
	s_waitcnt lgkmcnt(1)
	v_mul_f64 v[125:126], v[54:55], v[102:103]
	v_mul_f64 v[54:55], v[54:55], v[100:101]
	v_fma_f64 v[108:109], v[56:57], v[108:109], v[119:120]
	v_fma_f64 v[110:111], v[56:57], v[110:111], -v[58:59]
	v_add_f64 v[56:57], v[121:122], v[117:118]
	v_add_f64 v[58:59], v[123:124], v[80:81]
	s_waitcnt lgkmcnt(0)
	v_mul_f64 v[123:124], v[74:75], v[106:107]
	v_fma_f64 v[119:120], v[52:53], v[100:101], v[125:126]
	v_fma_f64 v[121:122], v[52:53], v[102:103], -v[54:55]
	v_mul_f64 v[74:75], v[74:75], v[104:105]
	ds_read_b128 v[52:55], v114 offset:1248
	ds_read_b128 v[100:103], v114 offset:1456
	v_add_f64 v[56:57], v[56:57], v[108:109]
	v_add_f64 v[58:59], v[58:59], v[110:111]
	v_fma_f64 v[104:105], v[72:73], v[104:105], v[123:124]
	s_waitcnt lgkmcnt(1)
	v_mul_f64 v[125:126], v[70:71], v[54:55]
	v_mul_f64 v[70:71], v[70:71], v[52:53]
	v_fma_f64 v[74:75], v[72:73], v[106:107], -v[74:75]
	s_waitcnt lgkmcnt(0)
	v_mul_f64 v[123:124], v[66:67], v[100:101]
	v_add_f64 v[72:73], v[56:57], v[119:120]
	v_add_f64 v[106:107], v[58:59], v[121:122]
	v_fma_f64 v[56:57], v[68:69], v[52:53], v[125:126]
	v_fma_f64 v[58:59], v[68:69], v[54:55], -v[70:71]
	v_mul_f64 v[70:71], v[66:67], v[102:103]
	ds_read_b128 v[52:55], v114 offset:1664
	ds_read_b128 v[66:69], v114 offset:1872
	v_add_f64 v[72:73], v[72:73], v[104:105]
	v_add_f64 v[106:107], v[106:107], v[74:75]
	s_waitcnt lgkmcnt(1)
	v_mul_f64 v[125:126], v[62:63], v[54:55]
	v_mul_f64 v[127:128], v[62:63], v[52:53]
	v_fma_f64 v[62:63], v[64:65], v[100:101], v[70:71]
	v_fma_f64 v[64:65], v[64:65], v[102:103], -v[123:124]
	s_waitcnt lgkmcnt(0)
	v_mul_f64 v[123:124], v[98:99], v[68:69]
	v_add_f64 v[100:101], v[72:73], v[56:57]
	v_add_f64 v[102:103], v[106:107], v[58:59]
	ds_read_b128 v[70:73], v114 offset:2496
	v_fma_f64 v[106:107], v[60:61], v[52:53], v[125:126]
	v_fma_f64 v[60:61], v[60:61], v[54:55], -v[127:128]
	v_mul_f64 v[125:126], v[98:99], v[66:67]
	ds_read_b128 v[52:55], v114 offset:2080
	v_fma_f64 v[66:67], v[96:97], v[66:67], v[123:124]
	v_add_f64 v[127:128], v[100:101], v[62:63]
	ds_read_b128 v[98:101], v114 offset:2288
	v_add_f64 v[102:103], v[102:103], v[64:65]
	s_waitcnt lgkmcnt(1)
	v_mul_f64 v[129:130], v[94:95], v[54:55]
	v_mul_f64 v[94:95], v[94:95], v[52:53]
	v_fma_f64 v[68:69], v[96:97], v[68:69], -v[125:126]
	v_mul_f64 v[131:132], v[90:91], v[70:71]
	v_mul_f64 v[90:91], v[90:91], v[72:73]
	v_add_f64 v[96:97], v[127:128], v[106:107]
	v_add_f64 v[102:103], v[102:103], v[60:61]
	v_fma_f64 v[123:124], v[92:93], v[52:53], v[129:130]
	v_fma_f64 v[92:93], v[92:93], v[54:55], -v[94:95]
	s_waitcnt lgkmcnt(0)
	v_mul_f64 v[52:53], v[78:79], v[100:101]
	v_mul_f64 v[54:55], v[78:79], v[98:99]
	v_fma_f64 v[72:73], v[88:89], v[72:73], -v[131:132]
	v_add_f64 v[78:79], v[96:97], v[66:67]
	v_fma_f64 v[70:71], v[88:89], v[70:71], v[90:91]
	v_add_f64 v[94:95], v[102:103], v[68:69]
	v_fma_f64 v[90:91], v[76:77], v[98:99], v[52:53]
	v_fma_f64 v[76:77], v[76:77], v[100:101], -v[54:55]
	v_add_f64 v[88:89], v[86:87], -v[72:73]
	v_add_f64 v[52:53], v[78:79], v[123:124]
	v_add_f64 v[86:87], v[86:87], v[72:73]
	;; [unrolled: 1-line block ×4, first 2 shown]
	v_add_f64 v[94:95], v[115:116], -v[70:71]
	v_add_f64 v[151:152], v[80:81], -v[76:77]
	v_mul_f64 v[96:97], v[88:89], s[24:25]
	v_add_f64 v[52:53], v[52:53], v[90:91]
	v_mul_f64 v[98:99], v[86:87], s[20:21]
	v_add_f64 v[54:55], v[54:55], v[76:77]
	v_mul_f64 v[115:116], v[88:89], s[6:7]
	v_mul_f64 v[125:126], v[86:87], s[12:13]
	;; [unrolled: 1-line block ×5, first 2 shown]
	v_add_f64 v[52:53], v[52:53], v[70:71]
	v_mul_f64 v[70:71], v[88:89], s[14:15]
	v_add_f64 v[54:55], v[54:55], v[72:73]
	v_mul_f64 v[72:73], v[86:87], s[16:17]
	v_mul_f64 v[141:142], v[86:87], s[28:29]
	v_add_f64 v[76:77], v[80:81], v[76:77]
	v_mul_f64 v[80:81], v[88:89], s[34:35]
	v_mul_f64 v[86:87], v[86:87], s[36:37]
	v_fma_f64 v[100:101], v[78:79], s[20:21], v[96:97]
	v_fma_f64 v[102:103], v[94:95], s[42:43], v[98:99]
	v_fma_f64 v[96:97], v[78:79], s[20:21], -v[96:97]
	v_fma_f64 v[98:99], v[94:95], s[24:25], v[98:99]
	v_fma_f64 v[127:128], v[78:79], s[16:17], v[70:71]
	v_fma_f64 v[129:130], v[94:95], s[44:45], v[72:73]
	v_fma_f64 v[70:71], v[78:79], s[16:17], -v[70:71]
	v_fma_f64 v[72:73], v[94:95], s[14:15], v[72:73]
	;; [unrolled: 4-line block ×5, first 2 shown]
	v_add_f64 v[141:142], v[117:118], v[90:91]
	v_add_f64 v[90:91], v[117:118], -v[90:91]
	v_mul_f64 v[117:118], v[151:152], s[14:15]
	v_mul_f64 v[153:154], v[76:77], s[16:17]
	v_fma_f64 v[155:156], v[78:79], s[36:37], v[80:81]
	v_fma_f64 v[157:158], v[94:95], s[46:47], v[86:87]
	v_fma_f64 v[78:79], v[78:79], s[36:37], -v[80:81]
	v_fma_f64 v[80:81], v[94:95], s[34:35], v[86:87]
	v_add_f64 v[100:101], v[82:83], v[100:101]
	v_add_f64 v[102:103], v[84:85], v[102:103]
	;; [unrolled: 1-line block ×20, first 2 shown]
	v_fma_f64 v[94:95], v[141:142], s[16:17], v[117:118]
	v_fma_f64 v[139:140], v[90:91], s[44:45], v[153:154]
	v_add_f64 v[155:156], v[82:83], v[155:156]
	v_add_f64 v[157:158], v[84:85], v[157:158]
	;; [unrolled: 1-line block ×4, first 2 shown]
	v_mul_f64 v[82:83], v[151:152], s[18:19]
	v_mul_f64 v[84:85], v[76:77], s[22:23]
	v_add_f64 v[94:95], v[94:95], v[100:101]
	v_add_f64 v[100:101], v[139:140], v[102:103]
	v_fma_f64 v[102:103], v[141:142], s[16:17], -v[117:118]
	v_fma_f64 v[117:118], v[90:91], s[14:15], v[153:154]
	v_mul_f64 v[139:140], v[151:152], s[34:35]
	v_mul_f64 v[153:154], v[76:77], s[36:37]
	v_fma_f64 v[159:160], v[141:142], s[22:23], v[82:83]
	v_fma_f64 v[161:162], v[90:91], s[40:41], v[84:85]
	v_fma_f64 v[82:83], v[141:142], s[22:23], -v[82:83]
	v_fma_f64 v[84:85], v[90:91], s[18:19], v[84:85]
	v_add_f64 v[96:97], v[102:103], v[96:97]
	v_add_f64 v[98:99], v[117:118], v[98:99]
	v_fma_f64 v[102:103], v[141:142], s[36:37], v[139:140]
	v_fma_f64 v[117:118], v[90:91], s[46:47], v[153:154]
	v_add_f64 v[127:128], v[159:160], v[127:128]
	v_add_f64 v[129:130], v[161:162], v[129:130]
	;; [unrolled: 1-line block ×4, first 2 shown]
	v_mul_f64 v[82:83], v[151:152], s[38:39]
	v_mul_f64 v[84:85], v[76:77], s[28:29]
	v_add_f64 v[102:103], v[102:103], v[131:132]
	v_add_f64 v[117:118], v[117:118], v[133:134]
	v_mul_f64 v[131:132], v[151:152], s[30:31]
	v_mul_f64 v[133:134], v[76:77], s[12:13]
	v_fma_f64 v[139:140], v[141:142], s[36:37], -v[139:140]
	v_fma_f64 v[153:154], v[90:91], s[34:35], v[153:154]
	v_fma_f64 v[159:160], v[141:142], s[28:29], v[82:83]
	;; [unrolled: 1-line block ×3, first 2 shown]
	v_fma_f64 v[82:83], v[141:142], s[28:29], -v[82:83]
	v_fma_f64 v[84:85], v[90:91], s[38:39], v[84:85]
	v_fma_f64 v[163:164], v[141:142], s[12:13], v[131:132]
	;; [unrolled: 1-line block ×3, first 2 shown]
	v_add_f64 v[115:116], v[139:140], v[115:116]
	v_mul_f64 v[76:77], v[76:77], s[20:21]
	v_add_f64 v[139:140], v[159:160], v[143:144]
	v_add_f64 v[143:144], v[161:162], v[145:146]
	v_add_f64 v[145:146], v[110:111], -v[92:93]
	v_add_f64 v[92:93], v[110:111], v[92:93]
	v_add_f64 v[82:83], v[82:83], v[135:136]
	;; [unrolled: 1-line block ×5, first 2 shown]
	v_mul_f64 v[110:111], v[151:152], s[42:43]
	v_fma_f64 v[131:132], v[141:142], s[12:13], -v[131:132]
	v_add_f64 v[147:148], v[108:109], v[123:124]
	v_add_f64 v[108:109], v[108:109], -v[123:124]
	v_mul_f64 v[123:124], v[145:146], s[6:7]
	v_mul_f64 v[149:150], v[92:93], s[12:13]
	v_add_f64 v[125:126], v[153:154], v[125:126]
	v_fma_f64 v[133:134], v[90:91], s[30:31], v[133:134]
	v_fma_f64 v[151:152], v[141:142], s[20:21], v[110:111]
	;; [unrolled: 1-line block ×3, first 2 shown]
	v_fma_f64 v[110:111], v[141:142], s[20:21], -v[110:111]
	v_fma_f64 v[76:77], v[90:91], s[42:43], v[76:77]
	v_add_f64 v[86:87], v[131:132], v[86:87]
	v_fma_f64 v[90:91], v[147:148], s[12:13], v[123:124]
	v_fma_f64 v[131:132], v[108:109], s[30:31], v[149:150]
	v_add_f64 v[88:89], v[133:134], v[88:89]
	v_add_f64 v[133:134], v[151:152], v[155:156]
	;; [unrolled: 1-line block ×5, first 2 shown]
	v_mul_f64 v[80:81], v[145:146], s[34:35]
	v_mul_f64 v[110:111], v[92:93], s[36:37]
	v_add_f64 v[90:91], v[90:91], v[94:95]
	v_add_f64 v[94:95], v[131:132], v[100:101]
	v_fma_f64 v[100:101], v[147:148], s[12:13], -v[123:124]
	v_fma_f64 v[123:124], v[108:109], s[6:7], v[149:150]
	v_mul_f64 v[131:132], v[145:146], s[40:41]
	v_mul_f64 v[149:150], v[92:93], s[22:23]
	v_fma_f64 v[151:152], v[147:148], s[36:37], v[80:81]
	v_fma_f64 v[153:154], v[108:109], s[46:47], v[110:111]
	v_fma_f64 v[80:81], v[147:148], s[36:37], -v[80:81]
	v_fma_f64 v[110:111], v[108:109], s[34:35], v[110:111]
	v_add_f64 v[96:97], v[100:101], v[96:97]
	v_add_f64 v[98:99], v[123:124], v[98:99]
	v_fma_f64 v[100:101], v[147:148], s[22:23], v[131:132]
	v_fma_f64 v[123:124], v[108:109], s[18:19], v[149:150]
	v_add_f64 v[127:128], v[151:152], v[127:128]
	v_add_f64 v[129:130], v[153:154], v[129:130]
	;; [unrolled: 1-line block ×4, first 2 shown]
	v_mul_f64 v[80:81], v[145:146], s[42:43]
	v_mul_f64 v[110:111], v[92:93], s[20:21]
	v_add_f64 v[100:101], v[100:101], v[102:103]
	v_add_f64 v[102:103], v[123:124], v[117:118]
	v_mul_f64 v[117:118], v[145:146], s[14:15]
	v_mul_f64 v[123:124], v[92:93], s[16:17]
	v_fma_f64 v[131:132], v[147:148], s[22:23], -v[131:132]
	v_fma_f64 v[149:150], v[108:109], s[40:41], v[149:150]
	v_fma_f64 v[151:152], v[147:148], s[20:21], v[80:81]
	;; [unrolled: 1-line block ×3, first 2 shown]
	v_fma_f64 v[80:81], v[147:148], s[20:21], -v[80:81]
	v_fma_f64 v[110:111], v[108:109], s[42:43], v[110:111]
	v_fma_f64 v[155:156], v[147:148], s[16:17], v[117:118]
	;; [unrolled: 1-line block ×3, first 2 shown]
	v_add_f64 v[115:116], v[131:132], v[115:116]
	v_mul_f64 v[92:93], v[92:93], s[28:29]
	v_add_f64 v[131:132], v[151:152], v[139:140]
	v_add_f64 v[139:140], v[153:154], v[143:144]
	;; [unrolled: 1-line block ×5, first 2 shown]
	v_add_f64 v[135:136], v[121:122], -v[68:69]
	v_add_f64 v[68:69], v[121:122], v[68:69]
	v_add_f64 v[110:111], v[157:158], v[137:138]
	v_mul_f64 v[121:122], v[145:146], s[26:27]
	v_fma_f64 v[117:118], v[147:148], s[16:17], -v[117:118]
	v_add_f64 v[137:138], v[119:120], v[66:67]
	v_add_f64 v[66:67], v[119:120], -v[66:67]
	v_add_f64 v[125:126], v[149:150], v[125:126]
	v_mul_f64 v[119:120], v[135:136], s[18:19]
	v_mul_f64 v[143:144], v[68:69], s[22:23]
	v_fma_f64 v[123:124], v[108:109], s[14:15], v[123:124]
	v_fma_f64 v[145:146], v[147:148], s[28:29], v[121:122]
	;; [unrolled: 1-line block ×4, first 2 shown]
	v_add_f64 v[86:87], v[117:118], v[86:87]
	v_fma_f64 v[121:122], v[147:148], s[28:29], -v[121:122]
	v_fma_f64 v[108:109], v[137:138], s[22:23], v[119:120]
	v_fma_f64 v[117:118], v[66:67], s[40:41], v[143:144]
	v_add_f64 v[88:89], v[123:124], v[88:89]
	v_add_f64 v[123:124], v[145:146], v[133:134]
	;; [unrolled: 1-line block ×4, first 2 shown]
	v_mul_f64 v[92:93], v[135:136], s[38:39]
	v_mul_f64 v[141:142], v[68:69], s[20:21]
	v_add_f64 v[90:91], v[108:109], v[90:91]
	v_add_f64 v[94:95], v[117:118], v[94:95]
	v_fma_f64 v[108:109], v[137:138], s[22:23], -v[119:120]
	v_fma_f64 v[117:118], v[66:67], s[18:19], v[143:144]
	v_mul_f64 v[119:120], v[135:136], s[42:43]
	v_add_f64 v[78:79], v[121:122], v[78:79]
	v_mul_f64 v[121:122], v[68:69], s[28:29]
	v_fma_f64 v[143:144], v[137:138], s[28:29], v[92:93]
	v_fma_f64 v[92:93], v[137:138], s[28:29], -v[92:93]
	v_add_f64 v[96:97], v[108:109], v[96:97]
	v_add_f64 v[98:99], v[117:118], v[98:99]
	v_fma_f64 v[108:109], v[137:138], s[20:21], v[119:120]
	v_fma_f64 v[117:118], v[66:67], s[24:25], v[141:142]
	;; [unrolled: 1-line block ×4, first 2 shown]
	v_add_f64 v[70:71], v[92:93], v[70:71]
	v_mul_f64 v[92:93], v[135:136], s[6:7]
	v_add_f64 v[127:128], v[143:144], v[127:128]
	v_add_f64 v[100:101], v[108:109], v[100:101]
	;; [unrolled: 1-line block ×3, first 2 shown]
	v_fma_f64 v[108:109], v[137:138], s[20:21], -v[119:120]
	v_fma_f64 v[117:118], v[66:67], s[42:43], v[141:142]
	v_mul_f64 v[119:120], v[135:136], s[46:47]
	v_add_f64 v[72:73], v[121:122], v[72:73]
	v_mul_f64 v[121:122], v[68:69], s[12:13]
	v_mul_f64 v[141:142], v[68:69], s[36:37]
	v_fma_f64 v[143:144], v[137:138], s[12:13], v[92:93]
	v_fma_f64 v[92:93], v[137:138], s[12:13], -v[92:93]
	v_add_f64 v[108:109], v[108:109], v[115:116]
	v_add_f64 v[115:116], v[117:118], v[125:126]
	v_fma_f64 v[117:118], v[137:138], s[36:37], v[119:120]
	v_add_f64 v[129:130], v[145:146], v[129:130]
	v_fma_f64 v[145:146], v[66:67], s[30:31], v[121:122]
	v_fma_f64 v[121:122], v[66:67], s[6:7], v[121:122]
	;; [unrolled: 1-line block ×3, first 2 shown]
	v_add_f64 v[80:81], v[92:93], v[80:81]
	v_mul_f64 v[92:93], v[135:136], s[44:45]
	v_mul_f64 v[68:69], v[68:69], s[16:17]
	v_add_f64 v[84:85], v[117:118], v[84:85]
	v_add_f64 v[117:118], v[74:75], -v[60:61]
	v_add_f64 v[60:61], v[74:75], v[60:61]
	v_add_f64 v[82:83], v[121:122], v[82:83]
	v_add_f64 v[110:111], v[125:126], v[110:111]
	v_fma_f64 v[74:75], v[137:138], s[36:37], -v[119:120]
	v_fma_f64 v[119:120], v[66:67], s[46:47], v[141:142]
	v_fma_f64 v[121:122], v[137:138], s[16:17], v[92:93]
	;; [unrolled: 1-line block ×3, first 2 shown]
	v_add_f64 v[135:136], v[104:105], v[106:107]
	v_add_f64 v[104:105], v[104:105], -v[106:107]
	v_mul_f64 v[106:107], v[117:118], s[26:27]
	v_mul_f64 v[141:142], v[60:61], s[28:29]
	v_fma_f64 v[92:93], v[137:138], s[16:17], -v[92:93]
	v_fma_f64 v[66:67], v[66:67], s[44:45], v[68:69]
	v_add_f64 v[68:69], v[74:75], v[86:87]
	v_add_f64 v[74:75], v[119:120], v[88:89]
	;; [unrolled: 1-line block ×4, first 2 shown]
	v_fma_f64 v[119:120], v[135:136], s[28:29], v[106:107]
	v_fma_f64 v[121:122], v[104:105], s[38:39], v[141:142]
	v_add_f64 v[78:79], v[92:93], v[78:79]
	v_add_f64 v[66:67], v[66:67], v[76:77]
	v_mul_f64 v[76:77], v[117:118], s[30:31]
	v_mul_f64 v[92:93], v[60:61], s[12:13]
	v_fma_f64 v[106:107], v[135:136], s[28:29], -v[106:107]
	v_fma_f64 v[123:124], v[104:105], s[26:27], v[141:142]
	v_add_f64 v[90:91], v[119:120], v[90:91]
	v_add_f64 v[94:95], v[121:122], v[94:95]
	v_mul_f64 v[119:120], v[117:118], s[14:15]
	v_mul_f64 v[121:122], v[60:61], s[16:17]
	v_fma_f64 v[125:126], v[135:136], s[12:13], v[76:77]
	v_fma_f64 v[133:134], v[104:105], s[6:7], v[92:93]
	v_add_f64 v[96:97], v[106:107], v[96:97]
	v_add_f64 v[98:99], v[123:124], v[98:99]
	v_fma_f64 v[76:77], v[135:136], s[12:13], -v[76:77]
	v_fma_f64 v[92:93], v[104:105], s[30:31], v[92:93]
	v_fma_f64 v[106:107], v[135:136], s[16:17], v[119:120]
	;; [unrolled: 1-line block ×3, first 2 shown]
	v_add_f64 v[125:126], v[125:126], v[127:128]
	v_add_f64 v[127:128], v[133:134], v[129:130]
	v_mul_f64 v[133:134], v[60:61], s[36:37]
	v_add_f64 v[139:140], v[145:146], v[139:140]
	v_mul_f64 v[129:130], v[117:118], s[46:47]
	v_add_f64 v[70:71], v[76:77], v[70:71]
	v_add_f64 v[72:73], v[92:93], v[72:73]
	;; [unrolled: 1-line block ×4, first 2 shown]
	v_fma_f64 v[100:101], v[135:136], s[16:17], -v[119:120]
	v_fma_f64 v[102:103], v[104:105], s[14:15], v[121:122]
	v_fma_f64 v[119:120], v[104:105], s[34:35], v[133:134]
	v_mul_f64 v[121:122], v[117:118], s[42:43]
	v_mul_f64 v[123:124], v[60:61], s[20:21]
	v_add_f64 v[131:132], v[143:144], v[131:132]
	v_fma_f64 v[106:107], v[135:136], s[36:37], v[129:130]
	v_fma_f64 v[129:130], v[135:136], s[36:37], -v[129:130]
	v_fma_f64 v[133:134], v[104:105], s[46:47], v[133:134]
	v_add_f64 v[100:101], v[100:101], v[108:109]
	v_add_f64 v[102:103], v[102:103], v[115:116]
	;; [unrolled: 1-line block ×3, first 2 shown]
	v_fma_f64 v[115:116], v[135:136], s[20:21], v[121:122]
	v_fma_f64 v[119:120], v[104:105], s[24:25], v[123:124]
	v_add_f64 v[106:107], v[106:107], v[131:132]
	v_add_f64 v[129:130], v[129:130], v[80:81]
	;; [unrolled: 1-line block ×3, first 2 shown]
	v_fma_f64 v[80:81], v[135:136], s[20:21], -v[121:122]
	v_fma_f64 v[82:83], v[104:105], s[42:43], v[123:124]
	v_mul_f64 v[117:118], v[117:118], s[18:19]
	v_mul_f64 v[60:61], v[60:61], s[22:23]
	v_add_f64 v[115:116], v[115:116], v[84:85]
	v_add_f64 v[110:111], v[119:120], v[110:111]
	v_add_f64 v[84:85], v[58:59], -v[64:65]
	v_add_f64 v[119:120], v[58:59], v[64:65]
	v_add_f64 v[121:122], v[80:81], v[68:69]
	;; [unrolled: 1-line block ×3, first 2 shown]
	v_fma_f64 v[58:59], v[135:136], s[22:23], v[117:118]
	v_fma_f64 v[64:65], v[104:105], s[40:41], v[60:61]
	v_add_f64 v[133:134], v[56:57], v[62:63]
	v_add_f64 v[137:138], v[56:57], -v[62:63]
	v_mul_f64 v[56:57], v[84:85], s[34:35]
	v_mul_f64 v[62:63], v[119:120], s[36:37]
	v_fma_f64 v[68:69], v[135:136], s[22:23], -v[117:118]
	v_fma_f64 v[60:61], v[104:105], s[18:19], v[60:61]
	v_mul_f64 v[74:75], v[84:85], s[42:43]
	v_mul_f64 v[80:81], v[119:120], s[20:21]
	v_add_f64 v[104:105], v[58:59], v[86:87]
	v_add_f64 v[117:118], v[64:65], v[88:89]
	v_fma_f64 v[58:59], v[133:134], s[36:37], v[56:57]
	v_fma_f64 v[64:65], v[137:138], s[46:47], v[62:63]
	v_add_f64 v[135:136], v[68:69], v[78:79]
	v_add_f64 v[139:140], v[60:61], v[66:67]
	v_fma_f64 v[66:67], v[133:134], s[20:21], v[74:75]
	v_fma_f64 v[68:69], v[137:138], s[24:25], v[80:81]
	v_mul_f64 v[78:79], v[84:85], s[26:27]
	v_mul_f64 v[82:83], v[119:120], s[28:29]
	v_fma_f64 v[60:61], v[133:134], s[36:37], -v[56:57]
	v_add_f64 v[56:57], v[58:59], v[90:91]
	v_add_f64 v[58:59], v[64:65], v[94:95]
	v_mul_f64 v[88:89], v[84:85], s[44:45]
	v_add_f64 v[64:65], v[66:67], v[125:126]
	v_add_f64 v[66:67], v[68:69], v[127:128]
	v_fma_f64 v[68:69], v[133:134], s[20:21], -v[74:75]
	v_fma_f64 v[74:75], v[137:138], s[42:43], v[80:81]
	v_fma_f64 v[80:81], v[133:134], s[28:29], v[78:79]
	;; [unrolled: 1-line block ×3, first 2 shown]
	v_mul_f64 v[90:91], v[119:120], s[16:17]
	v_fma_f64 v[62:63], v[137:138], s[34:35], v[62:63]
	v_fma_f64 v[78:79], v[133:134], s[28:29], -v[78:79]
	v_fma_f64 v[82:83], v[137:138], s[26:27], v[82:83]
	v_add_f64 v[68:69], v[68:69], v[70:71]
	v_add_f64 v[70:71], v[74:75], v[72:73]
	;; [unrolled: 1-line block ×4, first 2 shown]
	v_fma_f64 v[80:81], v[133:134], s[16:17], v[88:89]
	v_fma_f64 v[86:87], v[137:138], s[14:15], v[90:91]
	v_fma_f64 v[88:89], v[133:134], s[16:17], -v[88:89]
	v_fma_f64 v[90:91], v[137:138], s[44:45], v[90:91]
	v_mul_f64 v[92:93], v[84:85], s[18:19]
	v_mul_f64 v[94:95], v[119:120], s[22:23]
	v_add_f64 v[60:61], v[60:61], v[96:97]
	v_add_f64 v[62:63], v[62:63], v[98:99]
	v_mul_f64 v[96:97], v[84:85], s[30:31]
	v_mul_f64 v[98:99], v[119:120], s[12:13]
	v_add_f64 v[76:77], v[78:79], v[100:101]
	v_add_f64 v[78:79], v[82:83], v[102:103]
	;; [unrolled: 1-line block ×5, first 2 shown]
	v_fma_f64 v[88:89], v[133:134], s[22:23], v[92:93]
	v_fma_f64 v[90:91], v[137:138], s[40:41], v[94:95]
	;; [unrolled: 1-line block ×4, first 2 shown]
	v_add_f64 v[80:81], v[80:81], v[106:107]
	v_fma_f64 v[106:107], v[133:134], s[12:13], -v[96:97]
	v_fma_f64 v[108:109], v[137:138], s[30:31], v[98:99]
	v_fma_f64 v[92:93], v[133:134], s[22:23], -v[92:93]
	v_fma_f64 v[94:95], v[137:138], s[18:19], v[94:95]
	v_add_f64 v[88:89], v[88:89], v[115:116]
	v_add_f64 v[90:91], v[90:91], v[110:111]
	;; [unrolled: 1-line block ×8, first 2 shown]
	ds_write_b128 v114, v[52:55]
	ds_write_b128 v114, v[56:59] offset:208
	ds_write_b128 v114, v[64:67] offset:416
	;; [unrolled: 1-line block ×12, first 2 shown]
	s_waitcnt lgkmcnt(0)
	s_barrier
	ds_read_b128 v[52:55], v114
	ds_read_b128 v[56:59], v114 offset:208
	v_mad_u64_u32 v[60:61], s[6:7], s2, v112, 0
	s_waitcnt lgkmcnt(1)
	v_mul_f64 v[62:63], v[50:51], v[54:55]
	v_mul_f64 v[50:51], v[50:51], v[52:53]
	v_mad_u64_u32 v[64:65], s[2:3], s3, v112, v[61:62]
	v_mad_u64_u32 v[65:66], s[2:3], s0, v113, 0
	v_fma_f64 v[52:53], v[48:49], v[52:53], v[62:63]
	v_fma_f64 v[50:51], v[48:49], v[54:55], -v[50:51]
	v_mov_b32_e32 v48, v66
	v_mad_u64_u32 v[54:55], s[2:3], s1, v113, v[48:49]
	s_mov_b32 s2, 0x7ab2bedd
	s_mov_b32 s3, 0x3f783c97
	v_mov_b32_e32 v66, v54
	s_waitcnt lgkmcnt(0)
	v_mul_f64 v[54:55], v[34:35], v[58:59]
	v_mul_f64 v[34:35], v[34:35], v[56:57]
	v_mov_b32_e32 v61, v64
	v_mul_f64 v[48:49], v[52:53], s[2:3]
	v_mul_f64 v[50:51], v[50:51], s[2:3]
	v_lshlrev_b64 v[52:53], 4, v[60:61]
	v_mov_b32_e32 v60, s5
	v_add_co_u32_e32 v61, vcc, s4, v52
	v_fma_f64 v[54:55], v[32:33], v[56:57], v[54:55]
	v_fma_f64 v[56:57], v[32:33], v[58:59], -v[34:35]
	ds_read_b128 v[32:35], v114 offset:416
	v_addc_co_u32_e32 v60, vcc, v60, v53, vcc
	v_lshlrev_b64 v[52:53], 4, v[65:66]
	s_mulk_i32 s1, 0xd0
	v_add_co_u32_e32 v58, vcc, v61, v52
	v_addc_co_u32_e32 v59, vcc, v60, v53, vcc
	global_store_dwordx4 v[58:59], v[48:51], off
	s_mul_hi_u32 s4, s0, 0xd0
	v_mul_f64 v[48:49], v[54:55], s[2:3]
	ds_read_b128 v[52:55], v114 offset:624
	s_waitcnt lgkmcnt(1)
	v_mul_f64 v[60:61], v[42:43], v[34:35]
	v_mul_f64 v[42:43], v[42:43], v[32:33]
	;; [unrolled: 1-line block ×3, first 2 shown]
	s_add_i32 s1, s4, s1
	s_waitcnt lgkmcnt(0)
	v_mul_f64 v[56:57], v[22:23], v[54:55]
	v_mul_f64 v[22:23], v[22:23], v[52:53]
	s_mulk_i32 s0, 0xd0
	v_mov_b32_e32 v62, s1
	v_fma_f64 v[32:33], v[40:41], v[32:33], v[60:61]
	v_fma_f64 v[34:35], v[40:41], v[34:35], -v[42:43]
	ds_read_b128 v[40:43], v114 offset:832
	v_add_co_u32_e32 v58, vcc, s0, v58
	v_addc_co_u32_e32 v59, vcc, v59, v62, vcc
	global_store_dwordx4 v[58:59], v[48:51], off
	v_mul_f64 v[32:33], v[32:33], s[2:3]
	v_mul_f64 v[34:35], v[34:35], s[2:3]
	v_fma_f64 v[48:49], v[20:21], v[52:53], v[56:57]
	v_fma_f64 v[50:51], v[20:21], v[54:55], -v[22:23]
	ds_read_b128 v[20:23], v114 offset:1040
	s_waitcnt lgkmcnt(1)
	v_mul_f64 v[52:53], v[46:47], v[42:43]
	v_mul_f64 v[46:47], v[46:47], v[40:41]
	v_mov_b32_e32 v60, s1
	v_add_co_u32_e32 v54, vcc, s0, v58
	v_addc_co_u32_e32 v55, vcc, v59, v60, vcc
	global_store_dwordx4 v[54:55], v[32:35], off
	v_fma_f64 v[40:41], v[44:45], v[40:41], v[52:53]
	v_mul_f64 v[32:33], v[48:49], s[2:3]
	v_mul_f64 v[34:35], v[50:51], s[2:3]
	v_fma_f64 v[42:43], v[44:45], v[42:43], -v[46:47]
	s_waitcnt lgkmcnt(0)
	v_mul_f64 v[44:45], v[18:19], v[22:23]
	v_mul_f64 v[18:19], v[18:19], v[20:21]
	v_mov_b32_e32 v48, s1
	v_add_co_u32_e32 v46, vcc, s0, v54
	v_addc_co_u32_e32 v47, vcc, v55, v48, vcc
	global_store_dwordx4 v[46:47], v[32:35], off
	v_fma_f64 v[20:21], v[16:17], v[20:21], v[44:45]
	v_mul_f64 v[32:33], v[40:41], s[2:3]
	v_mul_f64 v[34:35], v[42:43], s[2:3]
	ds_read_b128 v[40:43], v114 offset:1248
	v_fma_f64 v[22:23], v[16:17], v[22:23], -v[18:19]
	ds_read_b128 v[16:19], v114 offset:1456
	v_add_co_u32_e32 v46, vcc, s0, v46
	s_waitcnt lgkmcnt(1)
	v_mul_f64 v[44:45], v[38:39], v[42:43]
	v_mul_f64 v[38:39], v[38:39], v[40:41]
	v_addc_co_u32_e32 v47, vcc, v47, v48, vcc
	global_store_dwordx4 v[46:47], v[32:35], off
	v_mul_f64 v[20:21], v[20:21], s[2:3]
	v_mul_f64 v[22:23], v[22:23], s[2:3]
	v_fma_f64 v[32:33], v[36:37], v[40:41], v[44:45]
	v_fma_f64 v[34:35], v[36:37], v[42:43], -v[38:39]
	s_waitcnt lgkmcnt(0)
	v_mul_f64 v[36:37], v[10:11], v[18:19]
	v_mul_f64 v[10:11], v[10:11], v[16:17]
	v_add_co_u32_e32 v38, vcc, s0, v46
	v_addc_co_u32_e32 v39, vcc, v47, v48, vcc
	global_store_dwordx4 v[38:39], v[20:23], off
	v_mov_b32_e32 v40, s1
	v_mul_f64 v[20:21], v[32:33], s[2:3]
	v_mul_f64 v[22:23], v[34:35], s[2:3]
	ds_read_b128 v[32:35], v114 offset:1664
	v_fma_f64 v[16:17], v[8:9], v[16:17], v[36:37]
	v_fma_f64 v[18:19], v[8:9], v[18:19], -v[10:11]
	ds_read_b128 v[8:11], v114 offset:1872
	v_add_co_u32_e32 v38, vcc, s0, v38
	s_waitcnt lgkmcnt(1)
	v_mul_f64 v[36:37], v[30:31], v[34:35]
	v_mul_f64 v[30:31], v[30:31], v[32:33]
	v_addc_co_u32_e32 v39, vcc, v39, v40, vcc
	global_store_dwordx4 v[38:39], v[20:23], off
	v_mul_f64 v[16:17], v[16:17], s[2:3]
	v_mul_f64 v[18:19], v[18:19], s[2:3]
	v_fma_f64 v[20:21], v[28:29], v[32:33], v[36:37]
	v_fma_f64 v[22:23], v[28:29], v[34:35], -v[30:31]
	s_waitcnt lgkmcnt(0)
	v_mul_f64 v[28:29], v[6:7], v[10:11]
	v_mul_f64 v[6:7], v[6:7], v[8:9]
	v_add_co_u32_e32 v30, vcc, s0, v38
	v_addc_co_u32_e32 v31, vcc, v39, v40, vcc
	global_store_dwordx4 v[30:31], v[16:19], off
	v_mov_b32_e32 v32, s1
	v_mul_f64 v[16:17], v[20:21], s[2:3]
	v_mul_f64 v[18:19], v[22:23], s[2:3]
	ds_read_b128 v[20:23], v114 offset:2080
	v_fma_f64 v[8:9], v[4:5], v[8:9], v[28:29]
	v_fma_f64 v[10:11], v[4:5], v[10:11], -v[6:7]
	ds_read_b128 v[4:7], v114 offset:2288
	v_add_co_u32_e32 v30, vcc, s0, v30
	s_waitcnt lgkmcnt(1)
	v_mul_f64 v[28:29], v[26:27], v[22:23]
	v_mul_f64 v[26:27], v[26:27], v[20:21]
	v_addc_co_u32_e32 v31, vcc, v31, v32, vcc
	global_store_dwordx4 v[30:31], v[16:19], off
	ds_read_b128 v[16:19], v114 offset:2496
	v_mul_f64 v[8:9], v[8:9], s[2:3]
	v_mul_f64 v[10:11], v[10:11], s[2:3]
	v_fma_f64 v[20:21], v[24:25], v[20:21], v[28:29]
	v_fma_f64 v[22:23], v[24:25], v[22:23], -v[26:27]
	s_waitcnt lgkmcnt(1)
	v_mul_f64 v[26:27], v[2:3], v[6:7]
	v_mul_f64 v[2:3], v[2:3], v[4:5]
	s_waitcnt lgkmcnt(0)
	v_mul_f64 v[28:29], v[14:15], v[18:19]
	v_mul_f64 v[14:15], v[14:15], v[16:17]
	v_add_co_u32_e32 v24, vcc, s0, v30
	v_addc_co_u32_e32 v25, vcc, v31, v32, vcc
	v_fma_f64 v[4:5], v[0:1], v[4:5], v[26:27]
	v_fma_f64 v[2:3], v[0:1], v[6:7], -v[2:3]
	v_fma_f64 v[6:7], v[12:13], v[16:17], v[28:29]
	v_fma_f64 v[12:13], v[12:13], v[18:19], -v[14:15]
	global_store_dwordx4 v[24:25], v[8:11], off
	v_add_co_u32_e32 v14, vcc, s0, v24
	v_mul_f64 v[8:9], v[20:21], s[2:3]
	v_mul_f64 v[10:11], v[22:23], s[2:3]
	;; [unrolled: 1-line block ×6, first 2 shown]
	v_mov_b32_e32 v20, s1
	v_addc_co_u32_e32 v15, vcc, v25, v20, vcc
	global_store_dwordx4 v[14:15], v[8:11], off
	s_nop 0
	v_mov_b32_e32 v9, s1
	v_add_co_u32_e32 v8, vcc, s0, v14
	v_addc_co_u32_e32 v9, vcc, v15, v9, vcc
	global_store_dwordx4 v[8:9], v[0:3], off
	s_nop 0
	v_mov_b32_e32 v1, s1
	v_add_co_u32_e32 v0, vcc, s0, v8
	v_addc_co_u32_e32 v1, vcc, v9, v1, vcc
	global_store_dwordx4 v[0:1], v[4:7], off
.LBB0_2:
	s_endpgm
	.section	.rodata,"a",@progbits
	.p2align	6, 0x0
	.amdhsa_kernel bluestein_single_fwd_len169_dim1_dp_op_CI_CI
		.amdhsa_group_segment_fixed_size 51376
		.amdhsa_private_segment_fixed_size 0
		.amdhsa_kernarg_size 104
		.amdhsa_user_sgpr_count 6
		.amdhsa_user_sgpr_private_segment_buffer 1
		.amdhsa_user_sgpr_dispatch_ptr 0
		.amdhsa_user_sgpr_queue_ptr 0
		.amdhsa_user_sgpr_kernarg_segment_ptr 1
		.amdhsa_user_sgpr_dispatch_id 0
		.amdhsa_user_sgpr_flat_scratch_init 0
		.amdhsa_user_sgpr_private_segment_size 0
		.amdhsa_uses_dynamic_stack 0
		.amdhsa_system_sgpr_private_segment_wavefront_offset 0
		.amdhsa_system_sgpr_workgroup_id_x 1
		.amdhsa_system_sgpr_workgroup_id_y 0
		.amdhsa_system_sgpr_workgroup_id_z 0
		.amdhsa_system_sgpr_workgroup_info 0
		.amdhsa_system_vgpr_workitem_id 0
		.amdhsa_next_free_vgpr 217
		.amdhsa_next_free_sgpr 50
		.amdhsa_reserve_vcc 1
		.amdhsa_reserve_flat_scratch 0
		.amdhsa_float_round_mode_32 0
		.amdhsa_float_round_mode_16_64 0
		.amdhsa_float_denorm_mode_32 3
		.amdhsa_float_denorm_mode_16_64 3
		.amdhsa_dx10_clamp 1
		.amdhsa_ieee_mode 1
		.amdhsa_fp16_overflow 0
		.amdhsa_exception_fp_ieee_invalid_op 0
		.amdhsa_exception_fp_denorm_src 0
		.amdhsa_exception_fp_ieee_div_zero 0
		.amdhsa_exception_fp_ieee_overflow 0
		.amdhsa_exception_fp_ieee_underflow 0
		.amdhsa_exception_fp_ieee_inexact 0
		.amdhsa_exception_int_div_zero 0
	.end_amdhsa_kernel
	.text
.Lfunc_end0:
	.size	bluestein_single_fwd_len169_dim1_dp_op_CI_CI, .Lfunc_end0-bluestein_single_fwd_len169_dim1_dp_op_CI_CI
                                        ; -- End function
	.section	.AMDGPU.csdata,"",@progbits
; Kernel info:
; codeLenInByte = 18376
; NumSgprs: 54
; NumVgprs: 217
; ScratchSize: 0
; MemoryBound: 0
; FloatMode: 240
; IeeeMode: 1
; LDSByteSize: 51376 bytes/workgroup (compile time only)
; SGPRBlocks: 6
; VGPRBlocks: 54
; NumSGPRsForWavesPerEU: 54
; NumVGPRsForWavesPerEU: 217
; Occupancy: 1
; WaveLimiterHint : 1
; COMPUTE_PGM_RSRC2:SCRATCH_EN: 0
; COMPUTE_PGM_RSRC2:USER_SGPR: 6
; COMPUTE_PGM_RSRC2:TRAP_HANDLER: 0
; COMPUTE_PGM_RSRC2:TGID_X_EN: 1
; COMPUTE_PGM_RSRC2:TGID_Y_EN: 0
; COMPUTE_PGM_RSRC2:TGID_Z_EN: 0
; COMPUTE_PGM_RSRC2:TIDIG_COMP_CNT: 0
	.type	__hip_cuid_e5a6e6f5f0e7afa5,@object ; @__hip_cuid_e5a6e6f5f0e7afa5
	.section	.bss,"aw",@nobits
	.globl	__hip_cuid_e5a6e6f5f0e7afa5
__hip_cuid_e5a6e6f5f0e7afa5:
	.byte	0                               ; 0x0
	.size	__hip_cuid_e5a6e6f5f0e7afa5, 1

	.ident	"AMD clang version 19.0.0git (https://github.com/RadeonOpenCompute/llvm-project roc-6.4.0 25133 c7fe45cf4b819c5991fe208aaa96edf142730f1d)"
	.section	".note.GNU-stack","",@progbits
	.addrsig
	.addrsig_sym __hip_cuid_e5a6e6f5f0e7afa5
	.amdgpu_metadata
---
amdhsa.kernels:
  - .args:
      - .actual_access:  read_only
        .address_space:  global
        .offset:         0
        .size:           8
        .value_kind:     global_buffer
      - .actual_access:  read_only
        .address_space:  global
        .offset:         8
        .size:           8
        .value_kind:     global_buffer
      - .actual_access:  read_only
        .address_space:  global
        .offset:         16
        .size:           8
        .value_kind:     global_buffer
      - .actual_access:  read_only
        .address_space:  global
        .offset:         24
        .size:           8
        .value_kind:     global_buffer
      - .actual_access:  read_only
        .address_space:  global
        .offset:         32
        .size:           8
        .value_kind:     global_buffer
      - .offset:         40
        .size:           8
        .value_kind:     by_value
      - .address_space:  global
        .offset:         48
        .size:           8
        .value_kind:     global_buffer
      - .address_space:  global
        .offset:         56
        .size:           8
        .value_kind:     global_buffer
      - .address_space:  global
        .offset:         64
        .size:           8
        .value_kind:     global_buffer
      - .address_space:  global
        .offset:         72
        .size:           8
        .value_kind:     global_buffer
      - .offset:         80
        .size:           4
        .value_kind:     by_value
      - .address_space:  global
        .offset:         88
        .size:           8
        .value_kind:     global_buffer
      - .address_space:  global
        .offset:         96
        .size:           8
        .value_kind:     global_buffer
    .group_segment_fixed_size: 51376
    .kernarg_segment_align: 8
    .kernarg_segment_size: 104
    .language:       OpenCL C
    .language_version:
      - 2
      - 0
    .max_flat_workgroup_size: 247
    .name:           bluestein_single_fwd_len169_dim1_dp_op_CI_CI
    .private_segment_fixed_size: 0
    .sgpr_count:     54
    .sgpr_spill_count: 0
    .symbol:         bluestein_single_fwd_len169_dim1_dp_op_CI_CI.kd
    .uniform_work_group_size: 1
    .uses_dynamic_stack: false
    .vgpr_count:     217
    .vgpr_spill_count: 0
    .wavefront_size: 64
amdhsa.target:   amdgcn-amd-amdhsa--gfx906
amdhsa.version:
  - 1
  - 2
...

	.end_amdgpu_metadata
